;; amdgpu-corpus repo=zjin-lcf/HeCBench kind=compiled arch=gfx1100 opt=O3
	.text
	.amdgcn_target "amdgcn-amd-amdhsa--gfx1100"
	.amdhsa_code_object_version 6
	.protected	_Z5task1PdS_ii          ; -- Begin function _Z5task1PdS_ii
	.globl	_Z5task1PdS_ii
	.p2align	8
	.type	_Z5task1PdS_ii,@function
_Z5task1PdS_ii:                         ; @_Z5task1PdS_ii
; %bb.0:
	s_clause 0x2
	s_load_b128 s[4:7], s[0:1], 0x8
	s_load_b32 s8, s[0:1], 0x18
	s_load_b32 s9, s[0:1], 0x24
	v_and_b32_e32 v1, 0x3ff, v0
	s_add_u32 s2, s0, 24
	s_addc_u32 s3, s1, 0
	s_waitcnt lgkmcnt(0)
	s_load_b64 s[12:13], s[4:5], 0x10
	s_mul_i32 s6, s8, s6
	s_and_b32 s8, s9, 0xffff
	s_add_i32 s6, s6, s14
	s_delay_alu instid0(SALU_CYCLE_1) | instskip(SKIP_1) | instid1(VALU_DEP_1)
	v_mad_u64_u32 v[24:25], null, s6, s8, v[1:2]
	s_mov_b32 s6, exec_lo
	v_cvt_f64_u32_e32 v[1:2], v24
	s_waitcnt lgkmcnt(0)
	s_delay_alu instid0(VALU_DEP_1)
	v_cmpx_nle_f64_e32 s[12:13], v[1:2]
	s_cbranch_execz .LBB0_148
; %bb.1:
	s_clause 0x1
	s_load_b32 s6, s[2:3], 0x4
	s_load_b32 s2, s[2:3], 0xc
	v_bfe_u32 v0, v0, 10, 10
	s_waitcnt lgkmcnt(0)
	s_mul_i32 s3, s6, s7
	s_lshr_b32 s2, s2, 16
	s_add_i32 s3, s3, s15
	s_delay_alu instid0(SALU_CYCLE_1) | instskip(NEXT) | instid1(VALU_DEP_1)
	v_mad_u64_u32 v[25:26], null, s3, s2, v[0:1]
	v_cvt_f64_u32_e32 v[3:4], v25
	s_delay_alu instid0(VALU_DEP_1)
	v_cmp_nle_f64_e32 vcc_lo, s[12:13], v[3:4]
	s_and_b32 exec_lo, exec_lo, vcc_lo
	s_cbranch_execz .LBB0_148
; %bb.2:
	s_load_b128 s[8:11], s[4:5], 0x0
	s_mov_b32 s2, 0xa1fae712
	s_mov_b32 s3, 0x3f91df46
	s_waitcnt lgkmcnt(0)
	v_mul_f64 v[5:6], s[10:11], s[2:3]
	s_delay_alu instid0(VALU_DEP_1) | instskip(NEXT) | instid1(VALU_DEP_2)
	v_readfirstlane_b32 s30, v5
	v_readfirstlane_b32 s31, v6
	v_cmp_ngt_f64_e64 s10, 0x41d00000, |v[5:6]|
	s_delay_alu instid0(VALU_DEP_2)
	v_trig_preop_f64 v[18:19], |s[30:31]|, 0
	v_trig_preop_f64 v[8:9], |s[30:31]|, 1
	v_cmp_le_f64_e64 s2, 0x7b000000, |s[30:31]|
	v_ldexp_f64 v[20:21], |s[30:31]|, 0xffffff80
	v_trig_preop_f64 v[6:7], |s[30:31]|, 2
	s_and_b32 vcc_lo, exec_lo, s10
	s_cbranch_vccz .LBB0_4
; %bb.3:
	s_and_b32 s3, s31, 0x7fffffff
	s_delay_alu instid0(VALU_DEP_2) | instskip(NEXT) | instid1(VALU_DEP_3)
	v_cndmask_b32_e64 v10, s30, v20, s2
	v_cndmask_b32_e64 v11, s3, v21, s2
	s_mov_b32 s4, 0
	s_mov_b32 s6, 0x33145c07
	;; [unrolled: 1-line block ×3, first 2 shown]
	s_delay_alu instid0(VALU_DEP_1) | instskip(SKIP_2) | instid1(VALU_DEP_3)
	v_mul_f64 v[12:13], v[18:19], v[10:11]
	v_mul_f64 v[14:15], v[8:9], v[10:11]
	;; [unrolled: 1-line block ×3, first 2 shown]
	v_fma_f64 v[16:17], v[18:19], v[10:11], -v[12:13]
	s_delay_alu instid0(VALU_DEP_3) | instskip(NEXT) | instid1(VALU_DEP_3)
	v_fma_f64 v[34:35], v[8:9], v[10:11], -v[14:15]
	v_fma_f64 v[10:11], v[6:7], v[10:11], -v[32:33]
	s_delay_alu instid0(VALU_DEP_3) | instskip(NEXT) | instid1(VALU_DEP_1)
	v_add_f64 v[22:23], v[14:15], v[16:17]
	v_add_f64 v[26:27], v[22:23], -v[14:15]
	v_add_f64 v[30:31], v[12:13], v[22:23]
	s_delay_alu instid0(VALU_DEP_2) | instskip(SKIP_1) | instid1(VALU_DEP_3)
	v_add_f64 v[28:29], v[22:23], -v[26:27]
	v_add_f64 v[16:17], v[16:17], -v[26:27]
	v_ldexp_f64 v[26:27], v[30:31], -2
	v_add_f64 v[12:13], v[30:31], -v[12:13]
	s_delay_alu instid0(VALU_DEP_4) | instskip(SKIP_1) | instid1(VALU_DEP_4)
	v_add_f64 v[14:15], v[14:15], -v[28:29]
	v_add_f64 v[28:29], v[32:33], v[34:35]
	v_cmp_neq_f64_e64 vcc_lo, 0x7ff00000, |v[26:27]|
	s_delay_alu instid0(VALU_DEP_4) | instskip(NEXT) | instid1(VALU_DEP_4)
	v_add_f64 v[12:13], v[22:23], -v[12:13]
	v_add_f64 v[14:15], v[16:17], v[14:15]
	v_fract_f64_e32 v[16:17], v[26:27]
	s_delay_alu instid0(VALU_DEP_2) | instskip(NEXT) | instid1(VALU_DEP_2)
	v_add_f64 v[22:23], v[28:29], v[14:15]
	v_dual_cndmask_b32 v17, 0, v17 :: v_dual_cndmask_b32 v16, 0, v16
	s_delay_alu instid0(VALU_DEP_1) | instskip(NEXT) | instid1(VALU_DEP_3)
	v_ldexp_f64 v[16:17], v[16:17], 2
	v_add_f64 v[26:27], v[12:13], v[22:23]
	v_add_f64 v[36:37], v[22:23], -v[28:29]
	s_delay_alu instid0(VALU_DEP_2) | instskip(NEXT) | instid1(VALU_DEP_2)
	v_add_f64 v[30:31], v[26:27], v[16:17]
	v_add_f64 v[42:43], v[22:23], -v[36:37]
	v_add_f64 v[14:15], v[14:15], -v[36:37]
	;; [unrolled: 1-line block ×3, first 2 shown]
	s_delay_alu instid0(VALU_DEP_4) | instskip(SKIP_1) | instid1(VALU_DEP_3)
	v_cmp_gt_f64_e32 vcc_lo, 0, v[30:31]
	v_add_f64 v[30:31], v[28:29], -v[32:33]
	v_add_f64 v[12:13], v[22:23], -v[12:13]
	s_and_b32 s2, vcc_lo, exec_lo
	s_cselect_b32 s5, 0x40100000, 0
	s_delay_alu instid0(VALU_DEP_2) | instskip(SKIP_3) | instid1(VALU_DEP_4)
	v_add_f64 v[40:41], v[28:29], -v[30:31]
	v_add_f64 v[16:17], v[16:17], s[4:5]
	v_add_f64 v[30:31], v[34:35], -v[30:31]
	v_add_f64 v[28:29], v[28:29], -v[42:43]
	;; [unrolled: 1-line block ×3, first 2 shown]
	s_delay_alu instid0(VALU_DEP_4) | instskip(NEXT) | instid1(VALU_DEP_3)
	v_add_f64 v[38:39], v[26:27], v[16:17]
	v_add_f64 v[14:15], v[14:15], v[28:29]
	s_delay_alu instid0(VALU_DEP_3) | instskip(NEXT) | instid1(VALU_DEP_3)
	v_add_f64 v[30:31], v[30:31], v[34:35]
	v_cvt_i32_f64_e32 v0, v[38:39]
	s_delay_alu instid0(VALU_DEP_2) | instskip(NEXT) | instid1(VALU_DEP_2)
	v_add_f64 v[14:15], v[30:31], v[14:15]
	v_cvt_f64_i32_e32 v[36:37], v0
	s_delay_alu instid0(VALU_DEP_2) | instskip(NEXT) | instid1(VALU_DEP_2)
	v_add_f64 v[10:11], v[10:11], v[14:15]
	v_add_f64 v[16:17], v[16:17], -v[36:37]
	s_delay_alu instid0(VALU_DEP_2) | instskip(NEXT) | instid1(VALU_DEP_2)
	v_add_f64 v[10:11], v[12:13], v[10:11]
	v_add_f64 v[28:29], v[26:27], v[16:17]
	s_delay_alu instid0(VALU_DEP_1) | instskip(SKIP_1) | instid1(VALU_DEP_2)
	v_add_f64 v[14:15], v[28:29], -v[16:17]
	v_cmp_le_f64_e32 vcc_lo, 0.5, v[28:29]
	v_add_f64 v[12:13], v[26:27], -v[14:15]
	s_and_b32 s2, vcc_lo, exec_lo
	s_cselect_b32 s5, 0x3ff00000, 0
	v_add_co_ci_u32_e64 v0, s2, 0, v0, vcc_lo
	s_mov_b32 s2, 0x54442d18
	s_mov_b32 s3, 0x3ff921fb
	s_delay_alu instid0(VALU_DEP_2) | instskip(SKIP_1) | instid1(VALU_DEP_1)
	v_add_f64 v[10:11], v[10:11], v[12:13]
	v_add_f64 v[12:13], v[28:29], -s[4:5]
	v_add_f64 v[14:15], v[12:13], v[10:11]
	s_delay_alu instid0(VALU_DEP_1) | instskip(SKIP_1) | instid1(VALU_DEP_2)
	v_mul_f64 v[16:17], v[14:15], s[2:3]
	v_add_f64 v[12:13], v[14:15], -v[12:13]
	v_fma_f64 v[22:23], v[14:15], s[2:3], -v[16:17]
	s_delay_alu instid0(VALU_DEP_2) | instskip(NEXT) | instid1(VALU_DEP_2)
	v_add_f64 v[10:11], v[10:11], -v[12:13]
	v_fma_f64 v[12:13], v[14:15], s[6:7], v[22:23]
	s_delay_alu instid0(VALU_DEP_1) | instskip(NEXT) | instid1(VALU_DEP_1)
	v_fma_f64 v[12:13], v[10:11], s[2:3], v[12:13]
	v_add_f64 v[10:11], v[16:17], v[12:13]
	s_delay_alu instid0(VALU_DEP_1) | instskip(NEXT) | instid1(VALU_DEP_1)
	v_add_f64 v[14:15], v[10:11], -v[16:17]
	v_add_f64 v[12:13], v[12:13], -v[14:15]
	s_cbranch_execz .LBB0_5
	s_branch .LBB0_6
.LBB0_4:
                                        ; implicit-def: $vgpr0
                                        ; implicit-def: $vgpr10_vgpr11
                                        ; implicit-def: $vgpr12_vgpr13
.LBB0_5:
	s_mov_b32 s2, 0x6dc9c883
	s_mov_b32 s3, 0x3fe45f30
	;; [unrolled: 1-line block ×3, first 2 shown]
	v_mul_f64 v[10:11], |s[30:31]|, s[2:3]
	s_mov_b32 s2, 0x54442d18
	s_mov_b32 s3, 0xbff921fb
	;; [unrolled: 1-line block ×3, first 2 shown]
	s_delay_alu instid0(VALU_DEP_1) | instskip(NEXT) | instid1(VALU_DEP_1)
	v_rndne_f64_e32 v[14:15], v[10:11]
	v_fma_f64 v[10:11], v[14:15], s[2:3], |s[30:31]|
	v_mul_f64 v[12:13], v[14:15], s[4:5]
	s_mov_b32 s2, 0x252049c0
	s_mov_b32 s3, 0xb97b839a
	v_cvt_i32_f64_e32 v0, v[14:15]
	s_delay_alu instid0(VALU_DEP_3) | instskip(NEXT) | instid1(VALU_DEP_3)
	v_fma_f64 v[22:23], v[14:15], s[4:5], v[10:11]
	v_add_f64 v[16:17], v[10:11], v[12:13]
	s_mov_b32 s5, 0x3c91a626
	s_delay_alu instid0(VALU_DEP_1) | instskip(NEXT) | instid1(VALU_DEP_3)
	v_add_f64 v[10:11], v[10:11], -v[16:17]
	v_add_f64 v[16:17], v[16:17], -v[22:23]
	s_delay_alu instid0(VALU_DEP_2) | instskip(SKIP_1) | instid1(VALU_DEP_2)
	v_add_f64 v[10:11], v[10:11], v[12:13]
	v_fma_f64 v[12:13], v[14:15], s[4:5], v[12:13]
	v_add_f64 v[10:11], v[16:17], v[10:11]
	s_delay_alu instid0(VALU_DEP_1) | instskip(NEXT) | instid1(VALU_DEP_1)
	v_add_f64 v[10:11], v[10:11], -v[12:13]
	v_fma_f64 v[12:13], v[14:15], s[2:3], v[10:11]
	s_delay_alu instid0(VALU_DEP_1) | instskip(NEXT) | instid1(VALU_DEP_1)
	v_add_f64 v[10:11], v[22:23], v[12:13]
	v_add_f64 v[16:17], v[10:11], -v[22:23]
	s_delay_alu instid0(VALU_DEP_1)
	v_add_f64 v[12:13], v[12:13], -v[16:17]
.LBB0_6:
	s_and_b32 vcc_lo, exec_lo, s10
	s_cbranch_vccz .LBB0_8
; %bb.7:
	v_cmp_le_f64_e64 vcc_lo, 0x7b000000, |s[30:31]|
	s_and_b32 s2, s31, 0x7fffffff
	s_mov_b32 s4, 0
	s_mov_b32 s6, 0x33145c07
	;; [unrolled: 1-line block ×3, first 2 shown]
	v_cndmask_b32_e32 v15, s2, v21, vcc_lo
	v_cndmask_b32_e32 v14, s30, v20, vcc_lo
	s_delay_alu instid0(VALU_DEP_1) | instskip(SKIP_2) | instid1(VALU_DEP_3)
	v_mul_f64 v[16:17], v[18:19], v[14:15]
	v_mul_f64 v[22:23], v[8:9], v[14:15]
	;; [unrolled: 1-line block ×3, first 2 shown]
	v_fma_f64 v[26:27], v[18:19], v[14:15], -v[16:17]
	s_delay_alu instid0(VALU_DEP_3) | instskip(NEXT) | instid1(VALU_DEP_3)
	v_fma_f64 v[38:39], v[8:9], v[14:15], -v[22:23]
	v_fma_f64 v[14:15], v[6:7], v[14:15], -v[36:37]
	s_delay_alu instid0(VALU_DEP_3) | instskip(NEXT) | instid1(VALU_DEP_1)
	v_add_f64 v[28:29], v[22:23], v[26:27]
	v_add_f64 v[30:31], v[28:29], -v[22:23]
	v_add_f64 v[34:35], v[16:17], v[28:29]
	s_delay_alu instid0(VALU_DEP_2) | instskip(SKIP_1) | instid1(VALU_DEP_3)
	v_add_f64 v[32:33], v[28:29], -v[30:31]
	v_add_f64 v[26:27], v[26:27], -v[30:31]
	v_ldexp_f64 v[30:31], v[34:35], -2
	v_add_f64 v[16:17], v[34:35], -v[16:17]
	s_delay_alu instid0(VALU_DEP_4) | instskip(SKIP_1) | instid1(VALU_DEP_4)
	v_add_f64 v[22:23], v[22:23], -v[32:33]
	v_add_f64 v[32:33], v[36:37], v[38:39]
	v_cmp_neq_f64_e64 vcc_lo, 0x7ff00000, |v[30:31]|
	s_delay_alu instid0(VALU_DEP_4) | instskip(NEXT) | instid1(VALU_DEP_4)
	v_add_f64 v[16:17], v[28:29], -v[16:17]
	v_add_f64 v[22:23], v[26:27], v[22:23]
	v_fract_f64_e32 v[26:27], v[30:31]
	s_delay_alu instid0(VALU_DEP_2) | instskip(NEXT) | instid1(VALU_DEP_2)
	v_add_f64 v[28:29], v[32:33], v[22:23]
	v_dual_cndmask_b32 v27, 0, v27 :: v_dual_cndmask_b32 v26, 0, v26
	s_delay_alu instid0(VALU_DEP_1) | instskip(NEXT) | instid1(VALU_DEP_3)
	v_ldexp_f64 v[26:27], v[26:27], 2
	v_add_f64 v[30:31], v[16:17], v[28:29]
	v_add_f64 v[40:41], v[28:29], -v[32:33]
	s_delay_alu instid0(VALU_DEP_2) | instskip(NEXT) | instid1(VALU_DEP_2)
	v_add_f64 v[34:35], v[30:31], v[26:27]
	v_add_f64 v[46:47], v[28:29], -v[40:41]
	v_add_f64 v[22:23], v[22:23], -v[40:41]
	;; [unrolled: 1-line block ×3, first 2 shown]
	s_delay_alu instid0(VALU_DEP_4) | instskip(SKIP_1) | instid1(VALU_DEP_3)
	v_cmp_gt_f64_e32 vcc_lo, 0, v[34:35]
	v_add_f64 v[34:35], v[32:33], -v[36:37]
	v_add_f64 v[16:17], v[28:29], -v[16:17]
	s_and_b32 s2, vcc_lo, exec_lo
	s_cselect_b32 s5, 0x40100000, 0
	s_delay_alu instid0(VALU_DEP_2) | instskip(SKIP_3) | instid1(VALU_DEP_4)
	v_add_f64 v[44:45], v[32:33], -v[34:35]
	v_add_f64 v[26:27], v[26:27], s[4:5]
	v_add_f64 v[34:35], v[38:39], -v[34:35]
	v_add_f64 v[32:33], v[32:33], -v[46:47]
	;; [unrolled: 1-line block ×3, first 2 shown]
	s_delay_alu instid0(VALU_DEP_4) | instskip(NEXT) | instid1(VALU_DEP_3)
	v_add_f64 v[42:43], v[30:31], v[26:27]
	v_add_f64 v[22:23], v[22:23], v[32:33]
	s_delay_alu instid0(VALU_DEP_3) | instskip(NEXT) | instid1(VALU_DEP_3)
	v_add_f64 v[34:35], v[34:35], v[38:39]
	v_cvt_i32_f64_e32 v5, v[42:43]
	s_delay_alu instid0(VALU_DEP_2) | instskip(NEXT) | instid1(VALU_DEP_2)
	v_add_f64 v[22:23], v[34:35], v[22:23]
	v_cvt_f64_i32_e32 v[40:41], v5
	s_delay_alu instid0(VALU_DEP_2) | instskip(NEXT) | instid1(VALU_DEP_2)
	v_add_f64 v[14:15], v[14:15], v[22:23]
	v_add_f64 v[26:27], v[26:27], -v[40:41]
	s_delay_alu instid0(VALU_DEP_2) | instskip(NEXT) | instid1(VALU_DEP_2)
	v_add_f64 v[14:15], v[16:17], v[14:15]
	v_add_f64 v[32:33], v[30:31], v[26:27]
	s_delay_alu instid0(VALU_DEP_1) | instskip(SKIP_1) | instid1(VALU_DEP_2)
	v_add_f64 v[22:23], v[32:33], -v[26:27]
	v_cmp_le_f64_e32 vcc_lo, 0.5, v[32:33]
	v_add_f64 v[16:17], v[30:31], -v[22:23]
	s_and_b32 s2, vcc_lo, exec_lo
	s_cselect_b32 s5, 0x3ff00000, 0
	v_add_co_ci_u32_e64 v5, s2, 0, v5, vcc_lo
	s_mov_b32 s2, 0x54442d18
	s_mov_b32 s3, 0x3ff921fb
	s_delay_alu instid0(VALU_DEP_2) | instskip(SKIP_1) | instid1(VALU_DEP_1)
	v_add_f64 v[14:15], v[14:15], v[16:17]
	v_add_f64 v[16:17], v[32:33], -s[4:5]
	v_add_f64 v[22:23], v[16:17], v[14:15]
	s_delay_alu instid0(VALU_DEP_1) | instskip(SKIP_1) | instid1(VALU_DEP_2)
	v_mul_f64 v[26:27], v[22:23], s[2:3]
	v_add_f64 v[16:17], v[22:23], -v[16:17]
	v_fma_f64 v[28:29], v[22:23], s[2:3], -v[26:27]
	s_delay_alu instid0(VALU_DEP_2) | instskip(NEXT) | instid1(VALU_DEP_2)
	v_add_f64 v[14:15], v[14:15], -v[16:17]
	v_fma_f64 v[16:17], v[22:23], s[6:7], v[28:29]
	s_delay_alu instid0(VALU_DEP_1) | instskip(NEXT) | instid1(VALU_DEP_1)
	v_fma_f64 v[16:17], v[14:15], s[2:3], v[16:17]
	v_add_f64 v[14:15], v[26:27], v[16:17]
	s_delay_alu instid0(VALU_DEP_1) | instskip(NEXT) | instid1(VALU_DEP_1)
	v_add_f64 v[22:23], v[14:15], -v[26:27]
	v_add_f64 v[16:17], v[16:17], -v[22:23]
	s_cbranch_execz .LBB0_9
	s_branch .LBB0_10
.LBB0_8:
                                        ; implicit-def: $vgpr5
                                        ; implicit-def: $vgpr14_vgpr15
                                        ; implicit-def: $vgpr16_vgpr17
.LBB0_9:
	s_mov_b32 s2, 0x6dc9c883
	s_mov_b32 s3, 0x3fe45f30
	;; [unrolled: 1-line block ×3, first 2 shown]
	v_mul_f64 v[14:15], |s[30:31]|, s[2:3]
	s_mov_b32 s2, 0x54442d18
	s_mov_b32 s3, 0xbff921fb
	;; [unrolled: 1-line block ×3, first 2 shown]
	s_delay_alu instid0(VALU_DEP_1) | instskip(NEXT) | instid1(VALU_DEP_1)
	v_rndne_f64_e32 v[22:23], v[14:15]
	v_fma_f64 v[14:15], v[22:23], s[2:3], |s[30:31]|
	v_mul_f64 v[16:17], v[22:23], s[4:5]
	s_mov_b32 s2, 0x252049c0
	s_mov_b32 s3, 0xb97b839a
	v_cvt_i32_f64_e32 v5, v[22:23]
	s_delay_alu instid0(VALU_DEP_3) | instskip(NEXT) | instid1(VALU_DEP_3)
	v_fma_f64 v[28:29], v[22:23], s[4:5], v[14:15]
	v_add_f64 v[26:27], v[14:15], v[16:17]
	s_mov_b32 s5, 0x3c91a626
	s_delay_alu instid0(VALU_DEP_1) | instskip(NEXT) | instid1(VALU_DEP_3)
	v_add_f64 v[14:15], v[14:15], -v[26:27]
	v_add_f64 v[26:27], v[26:27], -v[28:29]
	s_delay_alu instid0(VALU_DEP_2) | instskip(SKIP_1) | instid1(VALU_DEP_2)
	v_add_f64 v[14:15], v[14:15], v[16:17]
	v_fma_f64 v[16:17], v[22:23], s[4:5], v[16:17]
	v_add_f64 v[14:15], v[26:27], v[14:15]
	s_delay_alu instid0(VALU_DEP_1) | instskip(NEXT) | instid1(VALU_DEP_1)
	v_add_f64 v[14:15], v[14:15], -v[16:17]
	v_fma_f64 v[16:17], v[22:23], s[2:3], v[14:15]
	s_delay_alu instid0(VALU_DEP_1) | instskip(NEXT) | instid1(VALU_DEP_1)
	v_add_f64 v[14:15], v[28:29], v[16:17]
	v_add_f64 v[26:27], v[14:15], -v[28:29]
	s_delay_alu instid0(VALU_DEP_1)
	v_add_f64 v[16:17], v[16:17], -v[26:27]
.LBB0_10:
	s_and_b32 vcc_lo, exec_lo, s10
	s_cbranch_vccz .LBB0_12
; %bb.11:
	v_cmp_le_f64_e64 vcc_lo, 0x7b000000, |s[30:31]|
	s_and_b32 s2, s31, 0x7fffffff
	s_mov_b32 s4, 0
	s_mov_b32 s6, 0x33145c07
	;; [unrolled: 1-line block ×3, first 2 shown]
	v_cndmask_b32_e32 v23, s2, v21, vcc_lo
	v_cndmask_b32_e32 v22, s30, v20, vcc_lo
	s_delay_alu instid0(VALU_DEP_1) | instskip(SKIP_2) | instid1(VALU_DEP_3)
	v_mul_f64 v[26:27], v[18:19], v[22:23]
	v_mul_f64 v[28:29], v[8:9], v[22:23]
	;; [unrolled: 1-line block ×3, first 2 shown]
	v_fma_f64 v[30:31], v[18:19], v[22:23], -v[26:27]
	s_delay_alu instid0(VALU_DEP_3) | instskip(NEXT) | instid1(VALU_DEP_3)
	v_fma_f64 v[42:43], v[8:9], v[22:23], -v[28:29]
	v_fma_f64 v[22:23], v[6:7], v[22:23], -v[40:41]
	s_delay_alu instid0(VALU_DEP_3) | instskip(NEXT) | instid1(VALU_DEP_1)
	v_add_f64 v[32:33], v[28:29], v[30:31]
	v_add_f64 v[34:35], v[32:33], -v[28:29]
	v_add_f64 v[38:39], v[26:27], v[32:33]
	s_delay_alu instid0(VALU_DEP_2) | instskip(SKIP_1) | instid1(VALU_DEP_3)
	v_add_f64 v[36:37], v[32:33], -v[34:35]
	v_add_f64 v[30:31], v[30:31], -v[34:35]
	v_ldexp_f64 v[34:35], v[38:39], -2
	v_add_f64 v[26:27], v[38:39], -v[26:27]
	s_delay_alu instid0(VALU_DEP_4) | instskip(SKIP_1) | instid1(VALU_DEP_4)
	v_add_f64 v[28:29], v[28:29], -v[36:37]
	v_add_f64 v[36:37], v[40:41], v[42:43]
	v_cmp_neq_f64_e64 vcc_lo, 0x7ff00000, |v[34:35]|
	s_delay_alu instid0(VALU_DEP_4) | instskip(NEXT) | instid1(VALU_DEP_4)
	v_add_f64 v[26:27], v[32:33], -v[26:27]
	v_add_f64 v[28:29], v[30:31], v[28:29]
	v_fract_f64_e32 v[30:31], v[34:35]
	s_delay_alu instid0(VALU_DEP_2) | instskip(NEXT) | instid1(VALU_DEP_2)
	v_add_f64 v[32:33], v[36:37], v[28:29]
	v_dual_cndmask_b32 v31, 0, v31 :: v_dual_cndmask_b32 v30, 0, v30
	s_delay_alu instid0(VALU_DEP_1) | instskip(NEXT) | instid1(VALU_DEP_3)
	v_ldexp_f64 v[30:31], v[30:31], 2
	v_add_f64 v[34:35], v[26:27], v[32:33]
	v_add_f64 v[44:45], v[32:33], -v[36:37]
	s_delay_alu instid0(VALU_DEP_2) | instskip(NEXT) | instid1(VALU_DEP_2)
	v_add_f64 v[38:39], v[34:35], v[30:31]
	v_add_f64 v[50:51], v[32:33], -v[44:45]
	v_add_f64 v[28:29], v[28:29], -v[44:45]
	;; [unrolled: 1-line block ×3, first 2 shown]
	s_delay_alu instid0(VALU_DEP_4) | instskip(SKIP_1) | instid1(VALU_DEP_3)
	v_cmp_gt_f64_e32 vcc_lo, 0, v[38:39]
	v_add_f64 v[38:39], v[36:37], -v[40:41]
	v_add_f64 v[26:27], v[32:33], -v[26:27]
	s_and_b32 s2, vcc_lo, exec_lo
	s_cselect_b32 s5, 0x40100000, 0
	s_delay_alu instid0(VALU_DEP_2) | instskip(SKIP_3) | instid1(VALU_DEP_4)
	v_add_f64 v[48:49], v[36:37], -v[38:39]
	v_add_f64 v[30:31], v[30:31], s[4:5]
	v_add_f64 v[38:39], v[42:43], -v[38:39]
	v_add_f64 v[36:37], v[36:37], -v[50:51]
	v_add_f64 v[42:43], v[40:41], -v[48:49]
	s_delay_alu instid0(VALU_DEP_4) | instskip(NEXT) | instid1(VALU_DEP_3)
	v_add_f64 v[46:47], v[34:35], v[30:31]
	v_add_f64 v[28:29], v[28:29], v[36:37]
	s_delay_alu instid0(VALU_DEP_3) | instskip(NEXT) | instid1(VALU_DEP_3)
	v_add_f64 v[38:39], v[38:39], v[42:43]
	v_cvt_i32_f64_e32 v46, v[46:47]
	s_delay_alu instid0(VALU_DEP_2) | instskip(NEXT) | instid1(VALU_DEP_2)
	v_add_f64 v[28:29], v[38:39], v[28:29]
	v_cvt_f64_i32_e32 v[44:45], v46
	s_delay_alu instid0(VALU_DEP_2) | instskip(NEXT) | instid1(VALU_DEP_2)
	v_add_f64 v[22:23], v[22:23], v[28:29]
	v_add_f64 v[30:31], v[30:31], -v[44:45]
	s_delay_alu instid0(VALU_DEP_2) | instskip(NEXT) | instid1(VALU_DEP_2)
	v_add_f64 v[22:23], v[26:27], v[22:23]
	v_add_f64 v[36:37], v[34:35], v[30:31]
	s_delay_alu instid0(VALU_DEP_1) | instskip(SKIP_1) | instid1(VALU_DEP_2)
	v_add_f64 v[28:29], v[36:37], -v[30:31]
	v_cmp_le_f64_e32 vcc_lo, 0.5, v[36:37]
	v_add_f64 v[26:27], v[34:35], -v[28:29]
	s_and_b32 s2, vcc_lo, exec_lo
	s_cselect_b32 s5, 0x3ff00000, 0
	v_add_co_ci_u32_e64 v34, s2, 0, v46, vcc_lo
	s_mov_b32 s2, 0x54442d18
	s_mov_b32 s3, 0x3ff921fb
	s_delay_alu instid0(VALU_DEP_2) | instskip(SKIP_1) | instid1(VALU_DEP_1)
	v_add_f64 v[22:23], v[22:23], v[26:27]
	v_add_f64 v[26:27], v[36:37], -s[4:5]
	v_add_f64 v[28:29], v[26:27], v[22:23]
	s_delay_alu instid0(VALU_DEP_1) | instskip(SKIP_1) | instid1(VALU_DEP_2)
	v_mul_f64 v[30:31], v[28:29], s[2:3]
	v_add_f64 v[26:27], v[28:29], -v[26:27]
	v_fma_f64 v[32:33], v[28:29], s[2:3], -v[30:31]
	s_delay_alu instid0(VALU_DEP_2) | instskip(NEXT) | instid1(VALU_DEP_2)
	v_add_f64 v[22:23], v[22:23], -v[26:27]
	v_fma_f64 v[26:27], v[28:29], s[6:7], v[32:33]
	s_delay_alu instid0(VALU_DEP_1) | instskip(NEXT) | instid1(VALU_DEP_1)
	v_fma_f64 v[26:27], v[22:23], s[2:3], v[26:27]
	v_add_f64 v[22:23], v[30:31], v[26:27]
	s_delay_alu instid0(VALU_DEP_1) | instskip(NEXT) | instid1(VALU_DEP_1)
	v_add_f64 v[28:29], v[22:23], -v[30:31]
	v_add_f64 v[26:27], v[26:27], -v[28:29]
	s_cbranch_execz .LBB0_13
	s_branch .LBB0_14
.LBB0_12:
                                        ; implicit-def: $vgpr34
                                        ; implicit-def: $vgpr22_vgpr23
                                        ; implicit-def: $vgpr26_vgpr27
.LBB0_13:
	s_mov_b32 s2, 0x6dc9c883
	s_mov_b32 s3, 0x3fe45f30
	;; [unrolled: 1-line block ×3, first 2 shown]
	v_mul_f64 v[22:23], |s[30:31]|, s[2:3]
	s_mov_b32 s2, 0x54442d18
	s_mov_b32 s3, 0xbff921fb
	;; [unrolled: 1-line block ×3, first 2 shown]
	s_delay_alu instid0(VALU_DEP_1) | instskip(NEXT) | instid1(VALU_DEP_1)
	v_rndne_f64_e32 v[28:29], v[22:23]
	v_fma_f64 v[22:23], v[28:29], s[2:3], |s[30:31]|
	v_mul_f64 v[26:27], v[28:29], s[4:5]
	s_mov_b32 s2, 0x252049c0
	s_mov_b32 s3, 0xb97b839a
	v_cvt_i32_f64_e32 v34, v[28:29]
	s_delay_alu instid0(VALU_DEP_3) | instskip(NEXT) | instid1(VALU_DEP_3)
	v_fma_f64 v[32:33], v[28:29], s[4:5], v[22:23]
	v_add_f64 v[30:31], v[22:23], v[26:27]
	s_mov_b32 s5, 0x3c91a626
	s_delay_alu instid0(VALU_DEP_1) | instskip(NEXT) | instid1(VALU_DEP_3)
	v_add_f64 v[22:23], v[22:23], -v[30:31]
	v_add_f64 v[30:31], v[30:31], -v[32:33]
	s_delay_alu instid0(VALU_DEP_2) | instskip(SKIP_1) | instid1(VALU_DEP_2)
	v_add_f64 v[22:23], v[22:23], v[26:27]
	v_fma_f64 v[26:27], v[28:29], s[4:5], v[26:27]
	v_add_f64 v[22:23], v[30:31], v[22:23]
	s_delay_alu instid0(VALU_DEP_1) | instskip(NEXT) | instid1(VALU_DEP_1)
	v_add_f64 v[22:23], v[22:23], -v[26:27]
	v_fma_f64 v[26:27], v[28:29], s[2:3], v[22:23]
	s_delay_alu instid0(VALU_DEP_1) | instskip(NEXT) | instid1(VALU_DEP_1)
	v_add_f64 v[22:23], v[32:33], v[26:27]
	v_add_f64 v[30:31], v[22:23], -v[32:33]
	s_delay_alu instid0(VALU_DEP_1)
	v_add_f64 v[26:27], v[26:27], -v[30:31]
.LBB0_14:
	s_and_b32 vcc_lo, exec_lo, s10
	s_cbranch_vccz .LBB0_16
; %bb.15:
	v_cmp_le_f64_e64 vcc_lo, 0x7b000000, |s[30:31]|
	s_and_b32 s2, s31, 0x7fffffff
	s_mov_b32 s4, 0
	s_mov_b32 s6, 0x33145c07
	;; [unrolled: 1-line block ×3, first 2 shown]
	v_cndmask_b32_e32 v29, s2, v21, vcc_lo
	v_cndmask_b32_e32 v28, s30, v20, vcc_lo
	s_delay_alu instid0(VALU_DEP_1) | instskip(SKIP_2) | instid1(VALU_DEP_3)
	v_mul_f64 v[30:31], v[18:19], v[28:29]
	v_mul_f64 v[32:33], v[8:9], v[28:29]
	;; [unrolled: 1-line block ×3, first 2 shown]
	v_fma_f64 v[35:36], v[18:19], v[28:29], -v[30:31]
	s_delay_alu instid0(VALU_DEP_3) | instskip(NEXT) | instid1(VALU_DEP_3)
	v_fma_f64 v[47:48], v[8:9], v[28:29], -v[32:33]
	v_fma_f64 v[28:29], v[6:7], v[28:29], -v[45:46]
	s_delay_alu instid0(VALU_DEP_3) | instskip(NEXT) | instid1(VALU_DEP_1)
	v_add_f64 v[37:38], v[32:33], v[35:36]
	v_add_f64 v[39:40], v[37:38], -v[32:33]
	v_add_f64 v[43:44], v[30:31], v[37:38]
	s_delay_alu instid0(VALU_DEP_2) | instskip(SKIP_1) | instid1(VALU_DEP_3)
	v_add_f64 v[41:42], v[37:38], -v[39:40]
	v_add_f64 v[35:36], v[35:36], -v[39:40]
	v_ldexp_f64 v[39:40], v[43:44], -2
	v_add_f64 v[30:31], v[43:44], -v[30:31]
	s_delay_alu instid0(VALU_DEP_4) | instskip(SKIP_1) | instid1(VALU_DEP_4)
	v_add_f64 v[32:33], v[32:33], -v[41:42]
	v_add_f64 v[41:42], v[45:46], v[47:48]
	v_cmp_neq_f64_e64 vcc_lo, 0x7ff00000, |v[39:40]|
	s_delay_alu instid0(VALU_DEP_4) | instskip(NEXT) | instid1(VALU_DEP_4)
	v_add_f64 v[30:31], v[37:38], -v[30:31]
	v_add_f64 v[32:33], v[35:36], v[32:33]
	v_fract_f64_e32 v[35:36], v[39:40]
	s_delay_alu instid0(VALU_DEP_2) | instskip(NEXT) | instid1(VALU_DEP_2)
	v_add_f64 v[37:38], v[41:42], v[32:33]
	v_dual_cndmask_b32 v36, 0, v36 :: v_dual_cndmask_b32 v35, 0, v35
	s_delay_alu instid0(VALU_DEP_1) | instskip(NEXT) | instid1(VALU_DEP_3)
	v_ldexp_f64 v[35:36], v[35:36], 2
	v_add_f64 v[39:40], v[30:31], v[37:38]
	v_add_f64 v[49:50], v[37:38], -v[41:42]
	s_delay_alu instid0(VALU_DEP_2) | instskip(NEXT) | instid1(VALU_DEP_2)
	v_add_f64 v[43:44], v[39:40], v[35:36]
	v_add_f64 v[55:56], v[37:38], -v[49:50]
	v_add_f64 v[32:33], v[32:33], -v[49:50]
	;; [unrolled: 1-line block ×3, first 2 shown]
	s_delay_alu instid0(VALU_DEP_4) | instskip(SKIP_1) | instid1(VALU_DEP_3)
	v_cmp_gt_f64_e32 vcc_lo, 0, v[43:44]
	v_add_f64 v[43:44], v[41:42], -v[45:46]
	v_add_f64 v[30:31], v[37:38], -v[30:31]
	s_and_b32 s2, vcc_lo, exec_lo
	s_cselect_b32 s5, 0x40100000, 0
	s_delay_alu instid0(VALU_DEP_2) | instskip(SKIP_3) | instid1(VALU_DEP_4)
	v_add_f64 v[53:54], v[41:42], -v[43:44]
	v_add_f64 v[35:36], v[35:36], s[4:5]
	v_add_f64 v[43:44], v[47:48], -v[43:44]
	v_add_f64 v[41:42], v[41:42], -v[55:56]
	;; [unrolled: 1-line block ×3, first 2 shown]
	s_delay_alu instid0(VALU_DEP_4) | instskip(NEXT) | instid1(VALU_DEP_3)
	v_add_f64 v[51:52], v[39:40], v[35:36]
	v_add_f64 v[32:33], v[32:33], v[41:42]
	s_delay_alu instid0(VALU_DEP_3) | instskip(NEXT) | instid1(VALU_DEP_3)
	v_add_f64 v[43:44], v[43:44], v[47:48]
	v_cvt_i32_f64_e32 v51, v[51:52]
	s_delay_alu instid0(VALU_DEP_2) | instskip(NEXT) | instid1(VALU_DEP_2)
	v_add_f64 v[32:33], v[43:44], v[32:33]
	v_cvt_f64_i32_e32 v[49:50], v51
	s_delay_alu instid0(VALU_DEP_2) | instskip(NEXT) | instid1(VALU_DEP_2)
	v_add_f64 v[28:29], v[28:29], v[32:33]
	v_add_f64 v[35:36], v[35:36], -v[49:50]
	s_delay_alu instid0(VALU_DEP_2) | instskip(NEXT) | instid1(VALU_DEP_2)
	v_add_f64 v[28:29], v[30:31], v[28:29]
	v_add_f64 v[41:42], v[39:40], v[35:36]
	s_delay_alu instid0(VALU_DEP_1) | instskip(SKIP_1) | instid1(VALU_DEP_2)
	v_add_f64 v[32:33], v[41:42], -v[35:36]
	v_cmp_le_f64_e32 vcc_lo, 0.5, v[41:42]
	v_add_f64 v[30:31], v[39:40], -v[32:33]
	s_and_b32 s2, vcc_lo, exec_lo
	s_cselect_b32 s5, 0x3ff00000, 0
	v_add_co_ci_u32_e64 v35, s2, 0, v51, vcc_lo
	s_mov_b32 s2, 0x54442d18
	s_mov_b32 s3, 0x3ff921fb
	s_delay_alu instid0(VALU_DEP_2) | instskip(SKIP_1) | instid1(VALU_DEP_1)
	v_add_f64 v[28:29], v[28:29], v[30:31]
	v_add_f64 v[30:31], v[41:42], -s[4:5]
	v_add_f64 v[32:33], v[30:31], v[28:29]
	s_delay_alu instid0(VALU_DEP_1) | instskip(SKIP_1) | instid1(VALU_DEP_2)
	v_mul_f64 v[36:37], v[32:33], s[2:3]
	v_add_f64 v[30:31], v[32:33], -v[30:31]
	v_fma_f64 v[38:39], v[32:33], s[2:3], -v[36:37]
	s_delay_alu instid0(VALU_DEP_2) | instskip(NEXT) | instid1(VALU_DEP_2)
	v_add_f64 v[28:29], v[28:29], -v[30:31]
	v_fma_f64 v[30:31], v[32:33], s[6:7], v[38:39]
	s_delay_alu instid0(VALU_DEP_1) | instskip(NEXT) | instid1(VALU_DEP_1)
	v_fma_f64 v[30:31], v[28:29], s[2:3], v[30:31]
	v_add_f64 v[28:29], v[36:37], v[30:31]
	s_delay_alu instid0(VALU_DEP_1) | instskip(NEXT) | instid1(VALU_DEP_1)
	v_add_f64 v[32:33], v[28:29], -v[36:37]
	v_add_f64 v[30:31], v[30:31], -v[32:33]
	s_cbranch_execz .LBB0_17
	s_branch .LBB0_18
.LBB0_16:
                                        ; implicit-def: $vgpr35
                                        ; implicit-def: $vgpr28_vgpr29
                                        ; implicit-def: $vgpr30_vgpr31
.LBB0_17:
	s_mov_b32 s2, 0x6dc9c883
	s_mov_b32 s3, 0x3fe45f30
	;; [unrolled: 1-line block ×3, first 2 shown]
	v_mul_f64 v[28:29], |s[30:31]|, s[2:3]
	s_mov_b32 s2, 0x54442d18
	s_mov_b32 s3, 0xbff921fb
	;; [unrolled: 1-line block ×3, first 2 shown]
	s_delay_alu instid0(VALU_DEP_1) | instskip(NEXT) | instid1(VALU_DEP_1)
	v_rndne_f64_e32 v[32:33], v[28:29]
	v_fma_f64 v[28:29], v[32:33], s[2:3], |s[30:31]|
	v_mul_f64 v[30:31], v[32:33], s[4:5]
	s_mov_b32 s2, 0x252049c0
	s_mov_b32 s3, 0xb97b839a
	s_delay_alu instid0(VALU_DEP_2) | instskip(NEXT) | instid1(VALU_DEP_2)
	v_fma_f64 v[37:38], v[32:33], s[4:5], v[28:29]
	v_add_f64 v[35:36], v[28:29], v[30:31]
	s_mov_b32 s5, 0x3c91a626
	s_delay_alu instid0(VALU_DEP_1) | instskip(NEXT) | instid1(VALU_DEP_3)
	v_add_f64 v[28:29], v[28:29], -v[35:36]
	v_add_f64 v[35:36], v[35:36], -v[37:38]
	s_delay_alu instid0(VALU_DEP_2) | instskip(SKIP_1) | instid1(VALU_DEP_2)
	v_add_f64 v[28:29], v[28:29], v[30:31]
	v_fma_f64 v[30:31], v[32:33], s[4:5], v[30:31]
	v_add_f64 v[28:29], v[35:36], v[28:29]
	s_delay_alu instid0(VALU_DEP_1) | instskip(NEXT) | instid1(VALU_DEP_1)
	v_add_f64 v[28:29], v[28:29], -v[30:31]
	v_fma_f64 v[30:31], v[32:33], s[2:3], v[28:29]
	s_delay_alu instid0(VALU_DEP_1) | instskip(NEXT) | instid1(VALU_DEP_1)
	v_add_f64 v[28:29], v[37:38], v[30:31]
	v_add_f64 v[35:36], v[28:29], -v[37:38]
	s_delay_alu instid0(VALU_DEP_1)
	v_add_f64 v[30:31], v[30:31], -v[35:36]
	v_cvt_i32_f64_e32 v35, v[32:33]
.LBB0_18:
	v_cvt_i32_f64_e32 v32, s[12:13]
	v_fma_f64 v[38:39], s[8:9], s[8:9], 0x412e8480
	v_mul_f64 v[40:41], v[22:23], v[22:23]
	v_mul_f64 v[44:45], v[14:15], v[14:15]
	s_mov_b32 s4, 0xb42fdfa7
	s_mov_b32 s6, 0xf9a43bb8
	;; [unrolled: 1-line block ×4, first 2 shown]
	v_mul_f64 v[52:53], v[10:11], v[10:11]
	s_mov_b32 s12, 0x9037ab78
	s_mov_b32 s14, 0x46cc5e42
	;; [unrolled: 1-line block ×10, first 2 shown]
	v_mul_f64 v[80:81], v[26:27], 0.5
	v_add_f64 v[3:4], v[3:4], 1.0
	v_cmp_class_f64_e64 s2, s[30:31], 0x1f8
	v_cvt_f64_i32_e32 v[32:33], v32
	v_cmp_gt_f64_e64 s3, 0x10000000, v[38:39]
	v_fma_f64 v[54:55], v[40:41], s[14:15], s[12:13]
	v_fma_f64 v[50:51], v[44:45], s[6:7], s[4:5]
	v_mul_f64 v[56:57], v[40:41], -0.5
	v_fma_f64 v[62:63], v[44:45], s[14:15], s[12:13]
	v_mul_f64 v[64:65], v[44:45], -0.5
	v_mul_f64 v[82:83], v[22:23], -v[40:41]
	v_fma_f64 v[60:61], v[52:53], s[6:7], s[4:5]
	v_mul_f64 v[72:73], v[52:53], -0.5
	v_fma_f64 v[74:75], v[52:53], s[14:15], s[12:13]
	v_mul_f64 v[90:91], v[14:15], -v[44:45]
	v_mul_f64 v[100:101], v[10:11], -v[52:53]
	v_add_f64 v[32:33], v[32:33], 1.0
	v_cndmask_b32_e64 v46, 0, 1, s3
	v_fma_f64 v[54:55], v[40:41], v[54:55], s[18:19]
	s_and_b32 s3, s3, exec_lo
	v_add_f64 v[66:67], v[56:57], 1.0
	v_fma_f64 v[62:63], v[44:45], v[62:63], s[18:19]
	v_lshlrev_b32_e32 v48, 8, v46
	v_fma_f64 v[46:47], v[40:41], s[6:7], s[4:5]
	v_fma_f64 v[60:61], v[52:53], v[60:61], s[16:17]
	v_add_f64 v[78:79], v[64:65], 1.0
	v_add_f64 v[96:97], v[72:73], 1.0
	v_ldexp_f64 v[38:39], v[38:39], v48
	v_fma_f64 v[74:75], v[52:53], v[74:75], s[18:19]
	s_cselect_b32 s3, 0xffffff80, 0
	v_div_scale_f64 v[36:37], null, v[32:33], v[32:33], 0x405b8000
	v_div_scale_f64 v[88:89], vcc_lo, 0x405b8000, v[32:33], 0x405b8000
	v_add_f64 v[84:85], -v[66:67], 1.0
	v_fma_f64 v[46:47], v[40:41], v[46:47], s[16:17]
	v_fma_f64 v[60:61], v[52:53], v[60:61], s[20:21]
	v_add_f64 v[98:99], -v[78:79], 1.0
	v_add_f64 v[104:105], -v[96:97], 1.0
	v_rsq_f64_e32 v[58:59], v[38:39]
	v_rcp_f64_e32 v[42:43], v[36:37]
	v_add_f64 v[56:57], v[84:85], v[56:57]
	v_mul_f64 v[84:85], v[12:13], 0.5
	v_fma_f64 v[46:47], v[40:41], v[46:47], s[20:21]
	v_add_f64 v[64:65], v[98:99], v[64:65]
	v_add_f64 v[72:73], v[104:105], v[72:73]
	s_delay_alu instid0(TRANS32_DEP_2) | instskip(SKIP_1) | instid1(TRANS32_DEP_1)
	v_mul_f64 v[68:69], v[38:39], v[58:59]
	v_mul_f64 v[58:59], v[58:59], 0.5
	v_fma_f64 v[48:49], -v[36:37], v[42:43], 1.0
	v_fma_f64 v[56:57], v[22:23], -v[26:27], v[56:57]
	s_delay_alu instid0(VALU_DEP_3) | instskip(NEXT) | instid1(VALU_DEP_3)
	v_fma_f64 v[86:87], -v[58:59], v[68:69], 0.5
	v_fma_f64 v[42:43], v[42:43], v[48:49], v[42:43]
	v_fma_f64 v[48:49], v[44:45], v[50:51], s[16:17]
	v_mul_f64 v[50:51], v[28:29], v[28:29]
	s_delay_alu instid0(VALU_DEP_4) | instskip(NEXT) | instid1(VALU_DEP_4)
	v_fma_f64 v[68:69], v[68:69], v[86:87], v[68:69]
	v_fma_f64 v[70:71], -v[36:37], v[42:43], 1.0
	s_delay_alu instid0(VALU_DEP_4) | instskip(NEXT) | instid1(VALU_DEP_4)
	v_fma_f64 v[48:49], v[44:45], v[48:49], s[20:21]
	v_fma_f64 v[76:77], v[50:51], s[6:7], s[4:5]
	s_mov_b32 s4, 0x19f4ec90
	s_mov_b32 s6, 0x11110bb3
	;; [unrolled: 1-line block ×4, first 2 shown]
	v_fma_f64 v[54:55], v[40:41], v[54:55], s[4:5]
	v_fma_f64 v[46:47], v[40:41], v[46:47], s[6:7]
	v_mul_f64 v[92:93], v[50:51], -0.5
	v_fma_f64 v[94:95], v[50:51], s[14:15], s[12:13]
	v_fma_f64 v[62:63], v[44:45], v[62:63], s[4:5]
	s_mov_b32 s12, 0x16c16967
	s_mov_b32 s13, 0xbf56c16c
	v_fma_f64 v[60:61], v[52:53], v[60:61], s[6:7]
	s_mov_b32 s14, 0x55555555
	s_mov_b32 s15, 0x3fa55555
	v_fma_f64 v[42:43], v[42:43], v[70:71], v[42:43]
	v_mul_f64 v[70:71], v[16:17], 0.5
	v_fma_f64 v[48:49], v[44:45], v[48:49], s[6:7]
	v_fma_f64 v[76:77], v[50:51], v[76:77], s[16:17]
	;; [unrolled: 1-line block ×4, first 2 shown]
	v_add_f64 v[102:103], v[92:93], 1.0
	v_fma_f64 v[94:95], v[50:51], v[94:95], s[18:19]
	v_fma_f64 v[62:63], v[44:45], v[62:63], s[12:13]
	;; [unrolled: 1-line block ×3, first 2 shown]
	v_mul_f64 v[80:81], v[88:89], v[42:43]
	v_fma_f64 v[48:49], v[90:91], v[48:49], v[70:71]
	v_fma_f64 v[70:71], v[52:53], v[74:75], s[4:5]
	;; [unrolled: 1-line block ×3, first 2 shown]
	v_mul_f64 v[76:77], v[40:41], v[40:41]
	v_fma_f64 v[54:55], v[40:41], v[54:55], s[14:15]
	v_fma_f64 v[26:27], v[40:41], v[46:47], -v[26:27]
	v_fma_f64 v[40:41], v[58:59], v[86:87], v[58:59]
	v_fma_f64 v[46:47], -v[68:69], v[68:69], v[38:39]
	v_mul_f64 v[58:59], v[30:31], 0.5
	v_mul_f64 v[86:87], v[44:45], v[44:45]
	v_add_f64 v[98:99], -v[102:103], 1.0
	v_fma_f64 v[94:95], v[50:51], v[94:95], s[4:5]
	v_fma_f64 v[36:37], -v[36:37], v[80:81], v[88:89]
	v_mul_f64 v[88:89], v[28:29], -v[50:51]
	v_fma_f64 v[48:49], v[44:45], v[48:49], -v[16:17]
	v_fma_f64 v[70:71], v[52:53], v[70:71], s[12:13]
	v_fma_f64 v[74:75], v[50:51], v[74:75], s[6:7]
	v_fma_f64 v[44:45], v[44:45], v[62:63], s[14:15]
	v_fma_f64 v[16:17], v[14:15], -v[16:17], v[64:65]
	s_mov_b32 s7, 0xbfc55555
	s_mov_b32 s6, s14
	v_fma_f64 v[54:55], v[76:77], v[54:55], v[56:57]
	v_fma_f64 v[26:27], v[82:83], s[6:7], v[26:27]
	;; [unrolled: 1-line block ×3, first 2 shown]
	v_fma_f64 v[68:69], v[10:11], -v[12:13], v[72:73]
	v_add_f64 v[62:63], v[98:99], v[92:93]
	v_fma_f64 v[56:57], v[50:51], v[94:95], s[12:13]
	v_fma_f64 v[12:13], v[52:53], v[60:61], -v[12:13]
	v_div_fmas_f64 v[36:37], v[36:37], v[42:43], v[80:81]
	v_mul_f64 v[42:43], v[52:53], v[52:53]
	v_fma_f64 v[48:49], v[90:91], s[6:7], v[48:49]
	v_fma_f64 v[64:65], v[52:53], v[70:71], s[14:15]
	;; [unrolled: 1-line block ×4, first 2 shown]
	v_add_f64 v[44:45], v[66:67], v[54:55]
	v_add_f64 v[22:23], v[22:23], -v[26:27]
	v_fma_f64 v[26:27], -v[46:47], v[46:47], v[38:39]
	v_fma_f64 v[54:55], v[28:29], -v[30:31], v[62:63]
	v_fma_f64 v[52:53], v[50:51], v[56:57], s[14:15]
	v_fma_f64 v[12:13], v[100:101], s[6:7], v[12:13]
	v_div_fixup_f64 v[36:37], v[36:37], v[32:33], 0x405b8000
	v_mul_f64 v[32:33], v[50:51], v[50:51]
	v_add_f64 v[14:15], v[14:15], -v[48:49]
	v_fma_f64 v[42:43], v[42:43], v[64:65], v[68:69]
	v_fma_f64 v[30:31], v[50:51], v[58:59], -v[30:31]
	v_and_b32_e32 v48, 1, v34
	v_add_f64 v[16:17], v[78:79], v[16:17]
	s_delay_alu instid0(VALU_DEP_2)
	v_cmp_eq_u32_e32 vcc_lo, 0, v48
	v_fma_f64 v[40:41], v[26:27], v[40:41], v[46:47]
	v_cndmask_b32_e32 v22, v22, v44, vcc_lo
	v_add_f64 v[10:11], v[10:11], -v[12:13]
	v_fma_f64 v[26:27], v[36:37], v[3:4], 0xc04b8000
	v_lshlrev_b32_e32 v3, 30, v5
	v_and_b32_e32 v5, 1, v5
	v_xor_b32_e32 v15, 0x80000000, v15
	v_fma_f64 v[30:31], v[88:89], s[6:7], v[30:31]
	s_mov_b32 s6, 0x9fea6a70
	v_and_b32_e32 v44, 0x80000000, v3
	v_cmp_eq_u32_e64 s4, 0, v5
	v_fma_f64 v[3:4], v[32:33], v[52:53], v[54:55]
	v_add_f64 v[32:33], v[96:97], v[42:43]
	s_mov_b32 s7, 0x3fa05985
	s_delay_alu instid0(VALU_DEP_3) | instskip(SKIP_3) | instid1(VALU_DEP_4)
	v_cndmask_b32_e64 v12, v15, v17, s4
	v_cndmask_b32_e64 v5, v14, v16, s4
	v_ldexp_f64 v[15:16], v[40:41], s3
	v_cmp_class_f64_e64 s3, v[38:39], 0x260
	v_xor_b32_e32 v14, v12, v44
	s_delay_alu instid0(VALU_DEP_4) | instskip(SKIP_4) | instid1(VALU_DEP_4)
	v_cndmask_b32_e64 v13, 0, v5, s2
	v_lshlrev_b32_e32 v5, 30, v0
	v_and_b32_e32 v0, 1, v0
	v_cndmask_b32_e64 v12, 0, v22, s2
	v_cndmask_b32_e64 v14, 0x7ff80000, v14, s2
	v_xor_b32_e32 v5, s31, v5
	s_delay_alu instid0(VALU_DEP_4) | instskip(NEXT) | instid1(VALU_DEP_2)
	v_cmp_eq_u32_e64 s4, 0, v0
	v_and_b32_e32 v0, 0x80000000, v5
	s_delay_alu instid0(VALU_DEP_4)
	v_mul_f64 v[13:14], v[26:27], v[13:14]
	v_add_f64 v[28:29], v[28:29], -v[30:31]
	v_add_f64 v[3:4], v[102:103], v[3:4]
	v_cndmask_b32_e64 v5, v32, v10, s4
	v_cndmask_b32_e64 v10, v33, v11, s4
	s_mov_b32 s4, 0x78a05eaf
	s_mov_b32 s5, 0xbf90a5a3
	s_delay_alu instid0(VALU_DEP_1)
	v_xor_b32_e32 v0, v10, v0
	v_cndmask_b32_e64 v10, 0, v5, s2
	v_cndmask_b32_e64 v16, v16, v39, s3
	v_cndmask_b32_e64 v15, v15, v38, s3
	v_and_b32_e32 v5, 1, v35
	v_cndmask_b32_e64 v11, 0x7ff80000, v0, s2
	v_add_f64 v[0:1], v[1:2], 1.0
	v_lshlrev_b32_e32 v2, 30, v35
	s_delay_alu instid0(VALU_DEP_4) | instskip(SKIP_1) | instid1(VALU_DEP_3)
	v_cmp_eq_u32_e64 s3, 0, v5
	v_xor_b32_e32 v5, 0x80000000, v23
	v_xor_b32_e32 v2, s31, v2
	s_delay_alu instid0(VALU_DEP_1) | instskip(SKIP_3) | instid1(VALU_DEP_2)
	v_dual_cndmask_b32 v5, v5, v45 :: v_dual_and_b32 v2, 0x80000000, v2
	v_fma_f64 v[32:33], v[15:16], v[10:11], -v[13:14]
	v_cndmask_b32_e64 v4, v4, v29, s3
	v_cndmask_b32_e64 v3, v3, v28, s3
	v_xor_b32_e32 v4, v4, v2
	s_delay_alu instid0(VALU_DEP_2) | instskip(NEXT) | instid1(VALU_DEP_2)
	v_cndmask_b32_e64 v2, 0, v3, s2
	v_cndmask_b32_e64 v3, 0x7ff80000, v4, s2
	v_lshlrev_b32_e32 v4, 30, v34
	v_fma_f64 v[28:29], v[36:37], v[0:1], 0xc04b8000
	s_delay_alu instid0(VALU_DEP_3) | instskip(NEXT) | instid1(VALU_DEP_3)
	v_mul_f64 v[0:1], v[26:27], v[2:3]
	v_and_b32_e32 v4, 0x80000000, v4
	s_delay_alu instid0(VALU_DEP_1) | instskip(NEXT) | instid1(VALU_DEP_1)
	v_xor_b32_e32 v4, v5, v4
	v_cndmask_b32_e64 v13, 0x7ff80000, v4, s2
	v_mul_f64 v[2:3], v[32:33], v[32:33]
	s_delay_alu instid0(VALU_DEP_2) | instskip(NEXT) | instid1(VALU_DEP_2)
	v_fma_f64 v[4:5], 0x408f4000, v[12:13], v[0:1]
	v_fma_f64 v[0:1], v[28:29], v[28:29], v[2:3]
	s_delay_alu instid0(VALU_DEP_1) | instskip(SKIP_1) | instid1(VALU_DEP_2)
	v_fma_f64 v[2:3], v[4:5], v[4:5], v[0:1]
	v_add_f64 v[0:1], s[8:9], s[8:9]
	v_fma_f64 v[2:3], -s[8:9], s[8:9], v[2:3]
	s_delay_alu instid0(VALU_DEP_2) | instskip(NEXT) | instid1(VALU_DEP_2)
	v_mul_f64 v[10:11], v[0:1], v[4:5]
	v_mul_f64 v[12:13], v[2:3], v[2:3]
	s_delay_alu instid0(VALU_DEP_1) | instskip(NEXT) | instid1(VALU_DEP_1)
	v_fma_f64 v[10:11], v[10:11], v[10:11], v[12:13]
	v_cmp_gt_f64_e32 vcc_lo, 0x10000000, v[10:11]
	v_cndmask_b32_e64 v12, 0, 1, vcc_lo
	s_delay_alu instid0(VALU_DEP_1) | instskip(NEXT) | instid1(VALU_DEP_1)
	v_lshlrev_b32_e32 v12, 8, v12
	v_ldexp_f64 v[10:11], v[10:11], v12
	s_delay_alu instid0(VALU_DEP_1) | instskip(SKIP_3) | instid1(VALU_DEP_1)
	v_rsq_f64_e32 v[12:13], v[10:11]
	s_waitcnt_depctr 0xfff
	v_mul_f64 v[14:15], v[10:11], v[12:13]
	v_mul_f64 v[12:13], v[12:13], 0.5
	v_fma_f64 v[16:17], -v[12:13], v[14:15], 0.5
	s_delay_alu instid0(VALU_DEP_1) | instskip(SKIP_1) | instid1(VALU_DEP_2)
	v_fma_f64 v[14:15], v[14:15], v[16:17], v[14:15]
	v_fma_f64 v[12:13], v[12:13], v[16:17], v[12:13]
	v_fma_f64 v[16:17], -v[14:15], v[14:15], v[10:11]
	s_delay_alu instid0(VALU_DEP_1) | instskip(NEXT) | instid1(VALU_DEP_1)
	v_fma_f64 v[14:15], v[16:17], v[12:13], v[14:15]
	v_fma_f64 v[16:17], -v[14:15], v[14:15], v[10:11]
	s_delay_alu instid0(VALU_DEP_1) | instskip(SKIP_2) | instid1(VALU_DEP_2)
	v_fma_f64 v[12:13], v[16:17], v[12:13], v[14:15]
	v_cndmask_b32_e64 v14, 0, 0xffffff80, vcc_lo
	v_cmp_class_f64_e64 vcc_lo, v[10:11], 0x260
	v_ldexp_f64 v[12:13], v[12:13], v14
	s_delay_alu instid0(VALU_DEP_1) | instskip(NEXT) | instid1(VALU_DEP_1)
	v_dual_cndmask_b32 v11, v13, v11 :: v_dual_cndmask_b32 v10, v12, v10
	v_add_f64 v[2:3], v[2:3], v[10:11]
	s_delay_alu instid0(VALU_DEP_1) | instskip(NEXT) | instid1(VALU_DEP_1)
	v_mul_f64 v[2:3], v[2:3], 0.5
	v_cmp_gt_f64_e32 vcc_lo, 0x10000000, v[2:3]
	v_cndmask_b32_e64 v10, 0, 1, vcc_lo
	s_delay_alu instid0(VALU_DEP_1) | instskip(NEXT) | instid1(VALU_DEP_1)
	v_lshlrev_b32_e32 v10, 8, v10
	v_ldexp_f64 v[2:3], v[2:3], v10
	s_delay_alu instid0(VALU_DEP_1) | instskip(SKIP_3) | instid1(VALU_DEP_1)
	v_rsq_f64_e32 v[10:11], v[2:3]
	s_waitcnt_depctr 0xfff
	v_mul_f64 v[12:13], v[2:3], v[10:11]
	v_mul_f64 v[10:11], v[10:11], 0.5
	v_fma_f64 v[14:15], -v[10:11], v[12:13], 0.5
	s_delay_alu instid0(VALU_DEP_1) | instskip(SKIP_1) | instid1(VALU_DEP_2)
	v_fma_f64 v[12:13], v[12:13], v[14:15], v[12:13]
	v_fma_f64 v[10:11], v[10:11], v[14:15], v[10:11]
	v_fma_f64 v[14:15], -v[12:13], v[12:13], v[2:3]
	s_delay_alu instid0(VALU_DEP_1) | instskip(NEXT) | instid1(VALU_DEP_1)
	v_fma_f64 v[12:13], v[14:15], v[10:11], v[12:13]
	v_fma_f64 v[14:15], -v[12:13], v[12:13], v[2:3]
	s_delay_alu instid0(VALU_DEP_1) | instskip(SKIP_2) | instid1(VALU_DEP_2)
	v_fma_f64 v[10:11], v[14:15], v[10:11], v[12:13]
	v_cndmask_b32_e64 v12, 0, 0xffffff80, vcc_lo
	v_cmp_class_f64_e64 vcc_lo, v[2:3], 0x260
	v_ldexp_f64 v[10:11], v[10:11], v12
	s_delay_alu instid0(VALU_DEP_1) | instskip(NEXT) | instid1(VALU_DEP_1)
	v_dual_cndmask_b32 v3, v11, v3 :: v_dual_cndmask_b32 v2, v10, v2
	v_div_scale_f64 v[10:11], null, v[2:3], v[2:3], v[4:5]
	v_div_scale_f64 v[16:17], vcc_lo, v[4:5], v[2:3], v[4:5]
	s_delay_alu instid0(VALU_DEP_2) | instskip(SKIP_2) | instid1(VALU_DEP_1)
	v_rcp_f64_e32 v[12:13], v[10:11]
	s_waitcnt_depctr 0xfff
	v_fma_f64 v[14:15], -v[10:11], v[12:13], 1.0
	v_fma_f64 v[12:13], v[12:13], v[14:15], v[12:13]
	s_delay_alu instid0(VALU_DEP_1) | instskip(NEXT) | instid1(VALU_DEP_1)
	v_fma_f64 v[14:15], -v[10:11], v[12:13], 1.0
	v_fma_f64 v[12:13], v[12:13], v[14:15], v[12:13]
	s_delay_alu instid0(VALU_DEP_1) | instskip(NEXT) | instid1(VALU_DEP_1)
	v_mul_f64 v[14:15], v[16:17], v[12:13]
	v_fma_f64 v[10:11], -v[10:11], v[14:15], v[16:17]
	s_delay_alu instid0(VALU_DEP_1) | instskip(NEXT) | instid1(VALU_DEP_1)
	v_div_fmas_f64 v[10:11], v[10:11], v[12:13], v[14:15]
	v_div_fixup_f64 v[10:11], v[10:11], v[2:3], v[4:5]
	s_delay_alu instid0(VALU_DEP_1) | instskip(SKIP_2) | instid1(VALU_DEP_2)
	v_fma_f64 v[12:13], |v[10:11]|, -0.5, 0.5
	v_mul_f64 v[4:5], v[10:11], v[10:11]
	v_cmp_ge_f64_e64 vcc_lo, |v[10:11]|, 0.5
	v_dual_cndmask_b32 v4, v4, v12 :: v_dual_cndmask_b32 v5, v5, v13
	s_delay_alu instid0(VALU_DEP_1) | instskip(SKIP_4) | instid1(VALU_DEP_1)
	v_fma_f64 v[14:15], v[4:5], s[6:7], s[4:5]
	s_mov_b32 s4, 0x37024d6a
	s_mov_b32 s5, 0x3f940521
	;; [unrolled: 1-line block ×4, first 2 shown]
	v_fma_f64 v[14:15], v[4:5], v[14:15], s[4:5]
	s_mov_b32 s4, 0x98a70509
	s_mov_b32 s5, 0x3f7ab3a0
	s_delay_alu instid0(VALU_DEP_1) | instid1(SALU_CYCLE_1)
	v_fma_f64 v[14:15], v[4:5], v[14:15], s[4:5]
	s_mov_b32 s4, 0xa300c8d2
	s_mov_b32 s5, 0x3f88ed60
	s_delay_alu instid0(VALU_DEP_1) | instid1(SALU_CYCLE_1)
	v_fma_f64 v[14:15], v[4:5], v[14:15], s[4:5]
	s_mov_b32 s4, 0x4b77012b
	s_mov_b32 s5, 0x3f8c6fa8
	s_delay_alu instid0(VALU_DEP_1) | instid1(SALU_CYCLE_1)
	v_fma_f64 v[14:15], v[4:5], v[14:15], s[4:5]
	s_mov_b32 s4, 0x11dccb70
	s_mov_b32 s5, 0x3f91c6c1
	s_delay_alu instid0(VALU_DEP_1) | instid1(SALU_CYCLE_1)
	v_fma_f64 v[14:15], v[4:5], v[14:15], s[4:5]
	s_mov_b32 s4, 0xa0adacf
	s_mov_b32 s5, 0x3f96e89f
	s_delay_alu instid0(VALU_DEP_1) | instid1(SALU_CYCLE_1)
	v_fma_f64 v[14:15], v[4:5], v[14:15], s[4:5]
	s_mov_b32 s4, 0xc668963f
	s_mov_b32 s5, 0x3f9f1c72
	s_delay_alu instid0(VALU_DEP_1) | instid1(SALU_CYCLE_1)
	v_fma_f64 v[14:15], v[4:5], v[14:15], s[4:5]
	s_mov_b32 s4, 0xb41ce4bd
	s_mov_b32 s5, 0x3fa6db6d
	s_delay_alu instid0(VALU_DEP_1) | instid1(SALU_CYCLE_1)
	v_fma_f64 v[14:15], v[4:5], v[14:15], s[4:5]
	s_mov_b32 s4, 0x3336fd5b
	s_mov_b32 s5, 0x3fb33333
	s_delay_alu instid0(VALU_DEP_1) | instid1(SALU_CYCLE_1)
	v_fma_f64 v[14:15], v[4:5], v[14:15], s[4:5]
	s_mov_b32 s4, 0x55555380
	s_mov_b32 s5, 0x3fc55555
	s_delay_alu instid0(VALU_DEP_1) | instid1(SALU_CYCLE_1)
	v_fma_f64 v[14:15], v[4:5], v[14:15], s[4:5]
	s_mov_b32 s4, 0xeeb562d6
	s_mov_b32 s5, 0x3ffaf154
	s_delay_alu instid0(VALU_DEP_1) | instskip(NEXT) | instid1(VALU_DEP_1)
	v_mul_f64 v[14:15], v[4:5], v[14:15]
	v_fma_f64 v[4:5], v[10:11], v[14:15], v[10:11]
	s_delay_alu instid0(VALU_DEP_1)
	v_fma_f64 v[4:5], s[6:7], s[4:5], -v[4:5]
	s_and_saveexec_b32 s3, vcc_lo
	s_cbranch_execz .LBB0_20
; %bb.19:
	v_rsq_f64_e32 v[4:5], v[12:13]
	v_cmp_eq_f64_e32 vcc_lo, 0, v[12:13]
	s_mov_b32 s7, 0x3ffdd9ad
	s_waitcnt_depctr 0xfff
	v_mul_f64 v[16:17], v[12:13], v[4:5]
	v_mul_f64 v[4:5], v[4:5], 0.5
	s_delay_alu instid0(VALU_DEP_1) | instskip(NEXT) | instid1(VALU_DEP_1)
	v_fma_f64 v[22:23], -v[4:5], v[16:17], 0.5
	v_fma_f64 v[16:17], v[16:17], v[22:23], v[16:17]
	v_fma_f64 v[4:5], v[4:5], v[22:23], v[4:5]
	s_delay_alu instid0(VALU_DEP_2) | instskip(NEXT) | instid1(VALU_DEP_1)
	v_fma_f64 v[22:23], -v[16:17], v[16:17], v[12:13]
	v_fma_f64 v[4:5], v[22:23], v[4:5], v[16:17]
	s_delay_alu instid0(VALU_DEP_1) | instskip(NEXT) | instid1(VALU_DEP_1)
	v_dual_cndmask_b32 v5, v5, v13 :: v_dual_cndmask_b32 v4, v4, v12
	v_add_f64 v[16:17], v[4:5], v[4:5]
	v_mul_f64 v[22:23], v[4:5], v[4:5]
	s_delay_alu instid0(VALU_DEP_2) | instskip(NEXT) | instid1(VALU_DEP_1)
	v_rcp_f64_e32 v[30:31], v[16:17]
	v_add_f64 v[34:35], v[12:13], -v[22:23]
	v_fma_f64 v[38:39], v[4:5], v[4:5], -v[22:23]
	s_delay_alu instid0(VALU_DEP_2) | instskip(SKIP_3) | instid1(VALU_DEP_2)
	v_add_f64 v[12:13], v[12:13], -v[34:35]
	s_waitcnt_depctr 0xfff
	v_fma_f64 v[36:37], -v[16:17], v[30:31], 1.0
	v_add_f64 v[12:13], v[12:13], -v[22:23]
	v_fma_f64 v[22:23], v[36:37], v[30:31], v[30:31]
	s_delay_alu instid0(VALU_DEP_2) | instskip(NEXT) | instid1(VALU_DEP_2)
	v_add_f64 v[12:13], v[12:13], -v[38:39]
	v_fma_f64 v[30:31], -v[16:17], v[22:23], 1.0
	s_delay_alu instid0(VALU_DEP_2) | instskip(NEXT) | instid1(VALU_DEP_2)
	v_add_f64 v[12:13], v[34:35], v[12:13]
	v_fma_f64 v[22:23], v[30:31], v[22:23], v[22:23]
	s_delay_alu instid0(VALU_DEP_1) | instskip(NEXT) | instid1(VALU_DEP_1)
	v_mul_f64 v[30:31], v[12:13], v[22:23]
	v_fma_f64 v[12:13], -v[16:17], v[30:31], v[12:13]
	s_delay_alu instid0(VALU_DEP_1) | instskip(NEXT) | instid1(VALU_DEP_1)
	v_fma_f64 v[12:13], v[12:13], v[22:23], v[30:31]
	v_cndmask_b32_e64 v13, v13, 0, vcc_lo
	s_delay_alu instid0(VALU_DEP_2) | instskip(SKIP_1) | instid1(VALU_DEP_2)
	v_cndmask_b32_e64 v12, v12, 0, vcc_lo
	v_cmp_gt_f64_e32 vcc_lo, 0, v[10:11]
	v_add_f64 v[16:17], v[4:5], v[12:13]
	s_delay_alu instid0(VALU_DEP_1) | instskip(NEXT) | instid1(VALU_DEP_1)
	v_add_f64 v[4:5], v[16:17], -v[4:5]
	v_add_f64 v[4:5], v[12:13], -v[4:5]
	v_fma_f64 v[12:13], v[16:17], v[14:15], v[16:17]
	s_delay_alu instid0(VALU_DEP_2) | instskip(NEXT) | instid1(VALU_DEP_2)
	v_fma_f64 v[4:5], v[16:17], v[14:15], v[4:5]
	v_mul_f64 v[12:13], v[12:13], -2.0
	s_delay_alu instid0(VALU_DEP_2) | instskip(NEXT) | instid1(VALU_DEP_2)
	v_add_f64 v[4:5], v[16:17], v[4:5]
	v_fma_f64 v[12:13], s[6:7], s[4:5], v[12:13]
	s_delay_alu instid0(VALU_DEP_2) | instskip(NEXT) | instid1(VALU_DEP_1)
	v_add_f64 v[4:5], v[4:5], v[4:5]
	v_dual_cndmask_b32 v5, v5, v13 :: v_dual_cndmask_b32 v4, v4, v12
	v_cmp_neq_f64_e32 vcc_lo, -1.0, v[10:11]
	s_delay_alu instid0(VALU_DEP_2) | instskip(NEXT) | instid1(VALU_DEP_3)
	v_cndmask_b32_e32 v4, 0x54442d18, v4, vcc_lo
	v_cndmask_b32_e32 v5, 0x400921fb, v5, vcc_lo
	v_cmp_neq_f64_e32 vcc_lo, 1.0, v[10:11]
	s_delay_alu instid0(VALU_DEP_2)
	v_dual_cndmask_b32 v5, 0, v5 :: v_dual_cndmask_b32 v4, 0, v4
.LBB0_20:
	s_or_b32 exec_lo, exec_lo, s3
	s_delay_alu instid0(VALU_DEP_1)
	v_cmp_ngt_f64_e64 s11, 0x41d00000, |v[4:5]|
	v_trig_preop_f64 v[52:53], |v[4:5]|, 0
	v_trig_preop_f64 v[50:51], |v[4:5]|, 1
	v_ldexp_f64 v[54:55], |v[4:5]|, 0xffffff80
	v_trig_preop_f64 v[44:45], |v[4:5]|, 2
	v_and_b32_e32 v91, 0x7fffffff, v5
                                        ; implicit-def: $vgpr84
                                        ; implicit-def: $vgpr10_vgpr11
                                        ; implicit-def: $vgpr12_vgpr13
	s_and_saveexec_b32 s3, s11
	s_delay_alu instid0(SALU_CYCLE_1)
	s_xor_b32 s4, exec_lo, s3
	s_cbranch_execz .LBB0_22
; %bb.21:
	v_cmp_le_f64_e64 vcc_lo, 0x7b000000, |v[4:5]|
	v_mov_b32_e32 v42, 0
	s_mov_b32 s6, 0x54442d18
	s_mov_b32 s7, 0x3ff921fb
	;; [unrolled: 1-line block ×4, first 2 shown]
	v_dual_cndmask_b32 v11, v91, v55 :: v_dual_cndmask_b32 v10, v4, v54
	s_delay_alu instid0(VALU_DEP_1) | instskip(SKIP_2) | instid1(VALU_DEP_3)
	v_mul_f64 v[12:13], v[52:53], v[10:11]
	v_mul_f64 v[14:15], v[50:51], v[10:11]
	v_mul_f64 v[38:39], v[44:45], v[10:11]
	v_fma_f64 v[16:17], v[52:53], v[10:11], -v[12:13]
	s_delay_alu instid0(VALU_DEP_3) | instskip(NEXT) | instid1(VALU_DEP_3)
	v_fma_f64 v[40:41], v[50:51], v[10:11], -v[14:15]
	v_fma_f64 v[10:11], v[44:45], v[10:11], -v[38:39]
	s_delay_alu instid0(VALU_DEP_3) | instskip(NEXT) | instid1(VALU_DEP_1)
	v_add_f64 v[22:23], v[14:15], v[16:17]
	v_add_f64 v[30:31], v[22:23], -v[14:15]
	v_add_f64 v[36:37], v[12:13], v[22:23]
	s_delay_alu instid0(VALU_DEP_2) | instskip(SKIP_1) | instid1(VALU_DEP_3)
	v_add_f64 v[34:35], v[22:23], -v[30:31]
	v_add_f64 v[16:17], v[16:17], -v[30:31]
	v_ldexp_f64 v[30:31], v[36:37], -2
	v_add_f64 v[12:13], v[36:37], -v[12:13]
	s_delay_alu instid0(VALU_DEP_4) | instskip(SKIP_1) | instid1(VALU_DEP_4)
	v_add_f64 v[14:15], v[14:15], -v[34:35]
	v_add_f64 v[34:35], v[38:39], v[40:41]
	v_cmp_neq_f64_e64 vcc_lo, 0x7ff00000, |v[30:31]|
	s_delay_alu instid0(VALU_DEP_4) | instskip(NEXT) | instid1(VALU_DEP_4)
	v_add_f64 v[12:13], v[22:23], -v[12:13]
	v_add_f64 v[14:15], v[16:17], v[14:15]
	v_fract_f64_e32 v[16:17], v[30:31]
	s_delay_alu instid0(VALU_DEP_2) | instskip(NEXT) | instid1(VALU_DEP_2)
	v_add_f64 v[22:23], v[34:35], v[14:15]
	v_dual_cndmask_b32 v17, 0, v17 :: v_dual_cndmask_b32 v16, 0, v16
	s_delay_alu instid0(VALU_DEP_1) | instskip(NEXT) | instid1(VALU_DEP_3)
	v_ldexp_f64 v[16:17], v[16:17], 2
	v_add_f64 v[30:31], v[12:13], v[22:23]
	v_add_f64 v[46:47], v[22:23], -v[34:35]
	s_delay_alu instid0(VALU_DEP_2) | instskip(NEXT) | instid1(VALU_DEP_2)
	v_add_f64 v[36:37], v[30:31], v[16:17]
	v_add_f64 v[58:59], v[22:23], -v[46:47]
	v_add_f64 v[14:15], v[14:15], -v[46:47]
	;; [unrolled: 1-line block ×3, first 2 shown]
	s_delay_alu instid0(VALU_DEP_4) | instskip(SKIP_1) | instid1(VALU_DEP_3)
	v_cmp_gt_f64_e32 vcc_lo, 0, v[36:37]
	v_add_f64 v[36:37], v[34:35], -v[38:39]
	v_add_f64 v[12:13], v[22:23], -v[12:13]
	v_cndmask_b32_e64 v43, 0, 0x40100000, vcc_lo
	s_delay_alu instid0(VALU_DEP_3) | instskip(SKIP_2) | instid1(VALU_DEP_4)
	v_add_f64 v[56:57], v[34:35], -v[36:37]
	v_add_f64 v[36:37], v[40:41], -v[36:37]
	;; [unrolled: 1-line block ×3, first 2 shown]
	v_add_f64 v[16:17], v[16:17], v[42:43]
	s_delay_alu instid0(VALU_DEP_4) | instskip(NEXT) | instid1(VALU_DEP_3)
	v_add_f64 v[40:41], v[38:39], -v[56:57]
	v_add_f64 v[14:15], v[14:15], v[34:35]
	s_delay_alu instid0(VALU_DEP_3) | instskip(NEXT) | instid1(VALU_DEP_3)
	v_add_f64 v[48:49], v[30:31], v[16:17]
	v_add_f64 v[36:37], v[36:37], v[40:41]
	s_delay_alu instid0(VALU_DEP_2) | instskip(NEXT) | instid1(VALU_DEP_2)
	v_cvt_i32_f64_e32 v43, v[48:49]
	v_add_f64 v[14:15], v[36:37], v[14:15]
	s_delay_alu instid0(VALU_DEP_2) | instskip(NEXT) | instid1(VALU_DEP_2)
	v_cvt_f64_i32_e32 v[46:47], v43
	v_add_f64 v[10:11], v[10:11], v[14:15]
	s_delay_alu instid0(VALU_DEP_2) | instskip(NEXT) | instid1(VALU_DEP_2)
	v_add_f64 v[16:17], v[16:17], -v[46:47]
	v_add_f64 v[10:11], v[12:13], v[10:11]
	s_delay_alu instid0(VALU_DEP_2) | instskip(NEXT) | instid1(VALU_DEP_1)
	v_add_f64 v[34:35], v[30:31], v[16:17]
	v_add_f64 v[14:15], v[34:35], -v[16:17]
	v_cmp_le_f64_e32 vcc_lo, 0.5, v[34:35]
	s_delay_alu instid0(VALU_DEP_2) | instskip(SKIP_2) | instid1(VALU_DEP_3)
	v_add_f64 v[12:13], v[30:31], -v[14:15]
	v_add_co_ci_u32_e64 v84, s3, 0, v43, vcc_lo
	v_cndmask_b32_e64 v43, 0, 0x3ff00000, vcc_lo
	v_add_f64 v[10:11], v[10:11], v[12:13]
	s_delay_alu instid0(VALU_DEP_2) | instskip(NEXT) | instid1(VALU_DEP_1)
	v_add_f64 v[12:13], v[34:35], -v[42:43]
	v_add_f64 v[14:15], v[12:13], v[10:11]
	s_delay_alu instid0(VALU_DEP_1) | instskip(SKIP_1) | instid1(VALU_DEP_2)
	v_mul_f64 v[16:17], v[14:15], s[6:7]
	v_add_f64 v[12:13], v[14:15], -v[12:13]
	v_fma_f64 v[22:23], v[14:15], s[6:7], -v[16:17]
	s_delay_alu instid0(VALU_DEP_2) | instskip(NEXT) | instid1(VALU_DEP_2)
	v_add_f64 v[10:11], v[10:11], -v[12:13]
	v_fma_f64 v[12:13], v[14:15], s[12:13], v[22:23]
	s_delay_alu instid0(VALU_DEP_1) | instskip(NEXT) | instid1(VALU_DEP_1)
	v_fma_f64 v[12:13], v[10:11], s[6:7], v[12:13]
	v_add_f64 v[10:11], v[16:17], v[12:13]
	s_delay_alu instid0(VALU_DEP_1) | instskip(NEXT) | instid1(VALU_DEP_1)
	v_add_f64 v[14:15], v[10:11], -v[16:17]
	v_add_f64 v[12:13], v[12:13], -v[14:15]
	s_and_not1_saveexec_b32 s3, s4
	s_cbranch_execz .LBB0_24
	s_branch .LBB0_23
.LBB0_22:
	s_and_not1_saveexec_b32 s3, s4
	s_cbranch_execz .LBB0_24
.LBB0_23:
	s_mov_b32 s4, 0x6dc9c883
	s_mov_b32 s5, 0x3fe45f30
	;; [unrolled: 1-line block ×3, first 2 shown]
	v_mul_f64 v[10:11], |v[4:5]|, s[4:5]
	s_mov_b32 s4, 0x54442d18
	s_mov_b32 s5, 0xbff921fb
	s_mov_b32 s6, 0x33145c00
	s_delay_alu instid0(VALU_DEP_1) | instskip(NEXT) | instid1(VALU_DEP_1)
	v_rndne_f64_e32 v[14:15], v[10:11]
	v_fma_f64 v[10:11], v[14:15], s[4:5], |v[4:5]|
	v_mul_f64 v[12:13], v[14:15], s[6:7]
	s_mov_b32 s4, 0x252049c0
	s_mov_b32 s5, 0xb97b839a
	v_cvt_i32_f64_e32 v84, v[14:15]
	s_delay_alu instid0(VALU_DEP_3) | instskip(NEXT) | instid1(VALU_DEP_3)
	v_fma_f64 v[22:23], v[14:15], s[6:7], v[10:11]
	v_add_f64 v[16:17], v[10:11], v[12:13]
	s_mov_b32 s7, 0x3c91a626
	s_delay_alu instid0(VALU_DEP_1) | instskip(NEXT) | instid1(VALU_DEP_3)
	v_add_f64 v[10:11], v[10:11], -v[16:17]
	v_add_f64 v[16:17], v[16:17], -v[22:23]
	s_delay_alu instid0(VALU_DEP_2) | instskip(SKIP_1) | instid1(VALU_DEP_2)
	v_add_f64 v[10:11], v[10:11], v[12:13]
	v_fma_f64 v[12:13], v[14:15], s[6:7], v[12:13]
	v_add_f64 v[10:11], v[16:17], v[10:11]
	s_delay_alu instid0(VALU_DEP_1) | instskip(NEXT) | instid1(VALU_DEP_1)
	v_add_f64 v[10:11], v[10:11], -v[12:13]
	v_fma_f64 v[12:13], v[14:15], s[4:5], v[10:11]
	s_delay_alu instid0(VALU_DEP_1) | instskip(NEXT) | instid1(VALU_DEP_1)
	v_add_f64 v[10:11], v[22:23], v[12:13]
	v_add_f64 v[16:17], v[10:11], -v[22:23]
	s_delay_alu instid0(VALU_DEP_1)
	v_add_f64 v[12:13], v[12:13], -v[16:17]
.LBB0_24:
	s_or_b32 exec_lo, exec_lo, s3
                                        ; implicit-def: $vgpr85
                                        ; implicit-def: $vgpr14_vgpr15
                                        ; implicit-def: $vgpr16_vgpr17
	s_and_saveexec_b32 s3, s11
	s_delay_alu instid0(SALU_CYCLE_1)
	s_xor_b32 s4, exec_lo, s3
	s_cbranch_execz .LBB0_28
; %bb.25:
	v_cmp_le_f64_e64 vcc_lo, 0x7b000000, |v[4:5]|
	v_mov_b32_e32 v48, 0
	s_mov_b32 s6, 0x54442d18
	s_mov_b32 s7, 0x3ff921fb
	;; [unrolled: 1-line block ×4, first 2 shown]
	v_dual_cndmask_b32 v15, v91, v55 :: v_dual_cndmask_b32 v14, v4, v54
	s_delay_alu instid0(VALU_DEP_1) | instskip(SKIP_2) | instid1(VALU_DEP_3)
	v_mul_f64 v[16:17], v[52:53], v[14:15]
	v_mul_f64 v[22:23], v[50:51], v[14:15]
	;; [unrolled: 1-line block ×3, first 2 shown]
	v_fma_f64 v[30:31], v[52:53], v[14:15], -v[16:17]
	s_delay_alu instid0(VALU_DEP_3) | instskip(NEXT) | instid1(VALU_DEP_3)
	v_fma_f64 v[46:47], v[50:51], v[14:15], -v[22:23]
	v_fma_f64 v[14:15], v[44:45], v[14:15], -v[42:43]
	s_delay_alu instid0(VALU_DEP_3) | instskip(NEXT) | instid1(VALU_DEP_1)
	v_add_f64 v[34:35], v[22:23], v[30:31]
	v_add_f64 v[36:37], v[34:35], -v[22:23]
	v_add_f64 v[40:41], v[16:17], v[34:35]
	s_delay_alu instid0(VALU_DEP_2) | instskip(SKIP_1) | instid1(VALU_DEP_3)
	v_add_f64 v[38:39], v[34:35], -v[36:37]
	v_add_f64 v[30:31], v[30:31], -v[36:37]
	v_ldexp_f64 v[36:37], v[40:41], -2
	v_add_f64 v[16:17], v[40:41], -v[16:17]
	s_delay_alu instid0(VALU_DEP_4) | instskip(SKIP_1) | instid1(VALU_DEP_4)
	v_add_f64 v[22:23], v[22:23], -v[38:39]
	v_add_f64 v[38:39], v[42:43], v[46:47]
	v_cmp_neq_f64_e64 vcc_lo, 0x7ff00000, |v[36:37]|
	s_delay_alu instid0(VALU_DEP_4) | instskip(NEXT) | instid1(VALU_DEP_4)
	v_add_f64 v[16:17], v[34:35], -v[16:17]
	v_add_f64 v[22:23], v[30:31], v[22:23]
	v_fract_f64_e32 v[30:31], v[36:37]
	s_delay_alu instid0(VALU_DEP_2) | instskip(NEXT) | instid1(VALU_DEP_2)
	v_add_f64 v[34:35], v[38:39], v[22:23]
	v_dual_cndmask_b32 v31, 0, v31 :: v_dual_cndmask_b32 v30, 0, v30
	s_delay_alu instid0(VALU_DEP_1) | instskip(NEXT) | instid1(VALU_DEP_3)
	v_ldexp_f64 v[30:31], v[30:31], 2
	v_add_f64 v[36:37], v[16:17], v[34:35]
	v_add_f64 v[56:57], v[34:35], -v[38:39]
	s_delay_alu instid0(VALU_DEP_2) | instskip(NEXT) | instid1(VALU_DEP_2)
	v_add_f64 v[40:41], v[36:37], v[30:31]
	v_add_f64 v[62:63], v[34:35], -v[56:57]
	v_add_f64 v[22:23], v[22:23], -v[56:57]
	;; [unrolled: 1-line block ×3, first 2 shown]
	s_delay_alu instid0(VALU_DEP_4) | instskip(SKIP_1) | instid1(VALU_DEP_3)
	v_cmp_gt_f64_e32 vcc_lo, 0, v[40:41]
	v_add_f64 v[40:41], v[38:39], -v[42:43]
	v_add_f64 v[16:17], v[34:35], -v[16:17]
	v_cndmask_b32_e64 v49, 0, 0x40100000, vcc_lo
	s_delay_alu instid0(VALU_DEP_3) | instskip(SKIP_2) | instid1(VALU_DEP_4)
	v_add_f64 v[60:61], v[38:39], -v[40:41]
	v_add_f64 v[40:41], v[46:47], -v[40:41]
	v_add_f64 v[38:39], v[38:39], -v[62:63]
	v_add_f64 v[30:31], v[30:31], v[48:49]
	s_delay_alu instid0(VALU_DEP_4) | instskip(NEXT) | instid1(VALU_DEP_3)
	v_add_f64 v[46:47], v[42:43], -v[60:61]
	v_add_f64 v[22:23], v[22:23], v[38:39]
	s_delay_alu instid0(VALU_DEP_3) | instskip(NEXT) | instid1(VALU_DEP_3)
	v_add_f64 v[58:59], v[36:37], v[30:31]
	v_add_f64 v[40:41], v[40:41], v[46:47]
	s_delay_alu instid0(VALU_DEP_2) | instskip(NEXT) | instid1(VALU_DEP_2)
	v_cvt_i32_f64_e32 v49, v[58:59]
	v_add_f64 v[22:23], v[40:41], v[22:23]
	s_delay_alu instid0(VALU_DEP_2) | instskip(NEXT) | instid1(VALU_DEP_2)
	v_cvt_f64_i32_e32 v[56:57], v49
	v_add_f64 v[14:15], v[14:15], v[22:23]
	s_delay_alu instid0(VALU_DEP_2) | instskip(NEXT) | instid1(VALU_DEP_2)
	v_add_f64 v[30:31], v[30:31], -v[56:57]
	v_add_f64 v[14:15], v[16:17], v[14:15]
	s_delay_alu instid0(VALU_DEP_2) | instskip(NEXT) | instid1(VALU_DEP_1)
	v_add_f64 v[38:39], v[36:37], v[30:31]
	v_add_f64 v[22:23], v[38:39], -v[30:31]
	v_cmp_le_f64_e32 vcc_lo, 0.5, v[38:39]
	s_delay_alu instid0(VALU_DEP_2) | instskip(SKIP_2) | instid1(VALU_DEP_3)
	v_add_f64 v[16:17], v[36:37], -v[22:23]
	v_add_co_ci_u32_e64 v85, s3, 0, v49, vcc_lo
	v_cndmask_b32_e64 v49, 0, 0x3ff00000, vcc_lo
	v_add_f64 v[14:15], v[14:15], v[16:17]
	s_delay_alu instid0(VALU_DEP_2) | instskip(NEXT) | instid1(VALU_DEP_1)
	v_add_f64 v[16:17], v[38:39], -v[48:49]
	v_add_f64 v[22:23], v[16:17], v[14:15]
	s_delay_alu instid0(VALU_DEP_1) | instskip(SKIP_1) | instid1(VALU_DEP_2)
	v_mul_f64 v[30:31], v[22:23], s[6:7]
	v_add_f64 v[16:17], v[22:23], -v[16:17]
	v_fma_f64 v[34:35], v[22:23], s[6:7], -v[30:31]
	s_delay_alu instid0(VALU_DEP_2) | instskip(NEXT) | instid1(VALU_DEP_2)
	v_add_f64 v[14:15], v[14:15], -v[16:17]
	v_fma_f64 v[16:17], v[22:23], s[12:13], v[34:35]
	s_delay_alu instid0(VALU_DEP_1) | instskip(NEXT) | instid1(VALU_DEP_1)
	v_fma_f64 v[16:17], v[14:15], s[6:7], v[16:17]
	v_add_f64 v[14:15], v[30:31], v[16:17]
	s_delay_alu instid0(VALU_DEP_1) | instskip(NEXT) | instid1(VALU_DEP_1)
	v_add_f64 v[22:23], v[14:15], -v[30:31]
	v_add_f64 v[16:17], v[16:17], -v[22:23]
	s_and_not1_saveexec_b32 s3, s4
	s_cbranch_execnz .LBB0_29
.LBB0_26:
	s_or_b32 exec_lo, exec_lo, s3
	s_delay_alu instid0(SALU_CYCLE_1)
	s_and_b32 vcc_lo, exec_lo, s10
	s_cbranch_vccz .LBB0_30
.LBB0_27:
	v_cmp_le_f64_e64 vcc_lo, 0x7b000000, |s[30:31]|
	s_and_b32 s3, s31, 0x7fffffff
	s_mov_b32 s4, 0
	s_mov_b32 s6, 0x54442d18
	;; [unrolled: 1-line block ×5, first 2 shown]
	v_cndmask_b32_e32 v23, s3, v21, vcc_lo
	v_cndmask_b32_e32 v22, s30, v20, vcc_lo
	s_delay_alu instid0(VALU_DEP_1) | instskip(SKIP_2) | instid1(VALU_DEP_3)
	v_mul_f64 v[30:31], v[18:19], v[22:23]
	v_mul_f64 v[34:35], v[8:9], v[22:23]
	;; [unrolled: 1-line block ×3, first 2 shown]
	v_fma_f64 v[36:37], v[18:19], v[22:23], -v[30:31]
	s_delay_alu instid0(VALU_DEP_3) | instskip(NEXT) | instid1(VALU_DEP_3)
	v_fma_f64 v[56:57], v[8:9], v[22:23], -v[34:35]
	v_fma_f64 v[22:23], v[6:7], v[22:23], -v[48:49]
	s_delay_alu instid0(VALU_DEP_3) | instskip(NEXT) | instid1(VALU_DEP_1)
	v_add_f64 v[38:39], v[34:35], v[36:37]
	v_add_f64 v[40:41], v[38:39], -v[34:35]
	v_add_f64 v[46:47], v[30:31], v[38:39]
	s_delay_alu instid0(VALU_DEP_2) | instskip(SKIP_1) | instid1(VALU_DEP_3)
	v_add_f64 v[42:43], v[38:39], -v[40:41]
	v_add_f64 v[36:37], v[36:37], -v[40:41]
	v_ldexp_f64 v[40:41], v[46:47], -2
	v_add_f64 v[30:31], v[46:47], -v[30:31]
	s_delay_alu instid0(VALU_DEP_4) | instskip(SKIP_1) | instid1(VALU_DEP_4)
	v_add_f64 v[34:35], v[34:35], -v[42:43]
	v_add_f64 v[42:43], v[48:49], v[56:57]
	v_cmp_neq_f64_e64 vcc_lo, 0x7ff00000, |v[40:41]|
	s_delay_alu instid0(VALU_DEP_4) | instskip(NEXT) | instid1(VALU_DEP_4)
	v_add_f64 v[30:31], v[38:39], -v[30:31]
	v_add_f64 v[34:35], v[36:37], v[34:35]
	v_fract_f64_e32 v[36:37], v[40:41]
	s_delay_alu instid0(VALU_DEP_2) | instskip(NEXT) | instid1(VALU_DEP_2)
	v_add_f64 v[38:39], v[42:43], v[34:35]
	v_dual_cndmask_b32 v37, 0, v37 :: v_dual_cndmask_b32 v36, 0, v36
	s_delay_alu instid0(VALU_DEP_1) | instskip(NEXT) | instid1(VALU_DEP_3)
	v_ldexp_f64 v[36:37], v[36:37], 2
	v_add_f64 v[40:41], v[30:31], v[38:39]
	v_add_f64 v[58:59], v[38:39], -v[42:43]
	s_delay_alu instid0(VALU_DEP_2) | instskip(NEXT) | instid1(VALU_DEP_2)
	v_add_f64 v[46:47], v[40:41], v[36:37]
	v_add_f64 v[64:65], v[38:39], -v[58:59]
	v_add_f64 v[34:35], v[34:35], -v[58:59]
	v_add_f64 v[30:31], v[40:41], -v[30:31]
	s_delay_alu instid0(VALU_DEP_4) | instskip(SKIP_1) | instid1(VALU_DEP_3)
	v_cmp_gt_f64_e32 vcc_lo, 0, v[46:47]
	v_add_f64 v[46:47], v[42:43], -v[48:49]
	v_add_f64 v[30:31], v[38:39], -v[30:31]
	s_and_b32 s3, vcc_lo, exec_lo
	s_cselect_b32 s5, 0x40100000, 0
	s_delay_alu instid0(VALU_DEP_2) | instskip(SKIP_3) | instid1(VALU_DEP_4)
	v_add_f64 v[62:63], v[42:43], -v[46:47]
	v_add_f64 v[36:37], v[36:37], s[4:5]
	v_add_f64 v[46:47], v[56:57], -v[46:47]
	v_add_f64 v[42:43], v[42:43], -v[64:65]
	v_add_f64 v[56:57], v[48:49], -v[62:63]
	s_delay_alu instid0(VALU_DEP_4) | instskip(NEXT) | instid1(VALU_DEP_3)
	v_add_f64 v[60:61], v[40:41], v[36:37]
	v_add_f64 v[34:35], v[34:35], v[42:43]
	s_delay_alu instid0(VALU_DEP_3) | instskip(NEXT) | instid1(VALU_DEP_3)
	v_add_f64 v[46:47], v[46:47], v[56:57]
	v_cvt_i32_f64_e32 v60, v[60:61]
	s_delay_alu instid0(VALU_DEP_2) | instskip(NEXT) | instid1(VALU_DEP_2)
	v_add_f64 v[34:35], v[46:47], v[34:35]
	v_cvt_f64_i32_e32 v[58:59], v60
	s_delay_alu instid0(VALU_DEP_2) | instskip(NEXT) | instid1(VALU_DEP_2)
	v_add_f64 v[22:23], v[22:23], v[34:35]
	v_add_f64 v[36:37], v[36:37], -v[58:59]
	s_delay_alu instid0(VALU_DEP_2) | instskip(NEXT) | instid1(VALU_DEP_2)
	v_add_f64 v[22:23], v[30:31], v[22:23]
	v_add_f64 v[42:43], v[40:41], v[36:37]
	s_delay_alu instid0(VALU_DEP_1) | instskip(SKIP_1) | instid1(VALU_DEP_2)
	v_add_f64 v[34:35], v[42:43], -v[36:37]
	v_cmp_le_f64_e32 vcc_lo, 0.5, v[42:43]
	v_add_f64 v[30:31], v[40:41], -v[34:35]
	s_and_b32 s3, vcc_lo, exec_lo
	s_cselect_b32 s5, 0x3ff00000, 0
	v_add_co_ci_u32_e64 v86, s3, 0, v60, vcc_lo
	s_delay_alu instid0(VALU_DEP_2) | instskip(SKIP_1) | instid1(VALU_DEP_1)
	v_add_f64 v[22:23], v[22:23], v[30:31]
	v_add_f64 v[30:31], v[42:43], -s[4:5]
	v_add_f64 v[34:35], v[30:31], v[22:23]
	s_delay_alu instid0(VALU_DEP_1) | instskip(SKIP_1) | instid1(VALU_DEP_2)
	v_mul_f64 v[36:37], v[34:35], s[6:7]
	v_add_f64 v[30:31], v[34:35], -v[30:31]
	v_fma_f64 v[38:39], v[34:35], s[6:7], -v[36:37]
	s_delay_alu instid0(VALU_DEP_2) | instskip(NEXT) | instid1(VALU_DEP_2)
	v_add_f64 v[22:23], v[22:23], -v[30:31]
	v_fma_f64 v[30:31], v[34:35], s[12:13], v[38:39]
	s_delay_alu instid0(VALU_DEP_1) | instskip(NEXT) | instid1(VALU_DEP_1)
	v_fma_f64 v[30:31], v[22:23], s[6:7], v[30:31]
	v_add_f64 v[22:23], v[36:37], v[30:31]
	s_delay_alu instid0(VALU_DEP_1) | instskip(NEXT) | instid1(VALU_DEP_1)
	v_add_f64 v[34:35], v[22:23], -v[36:37]
	v_add_f64 v[30:31], v[30:31], -v[34:35]
	s_cbranch_execz .LBB0_31
	s_branch .LBB0_32
.LBB0_28:
	s_and_not1_saveexec_b32 s3, s4
	s_cbranch_execz .LBB0_26
.LBB0_29:
	s_mov_b32 s4, 0x6dc9c883
	s_mov_b32 s5, 0x3fe45f30
	;; [unrolled: 1-line block ×3, first 2 shown]
	v_mul_f64 v[14:15], |v[4:5]|, s[4:5]
	s_mov_b32 s4, 0x54442d18
	s_mov_b32 s5, 0xbff921fb
	;; [unrolled: 1-line block ×3, first 2 shown]
	s_delay_alu instid0(VALU_DEP_1) | instskip(NEXT) | instid1(VALU_DEP_1)
	v_rndne_f64_e32 v[22:23], v[14:15]
	v_fma_f64 v[14:15], v[22:23], s[4:5], |v[4:5]|
	v_mul_f64 v[16:17], v[22:23], s[6:7]
	s_mov_b32 s4, 0x252049c0
	s_mov_b32 s5, 0xb97b839a
	v_cvt_i32_f64_e32 v85, v[22:23]
	s_delay_alu instid0(VALU_DEP_3) | instskip(NEXT) | instid1(VALU_DEP_3)
	v_fma_f64 v[34:35], v[22:23], s[6:7], v[14:15]
	v_add_f64 v[30:31], v[14:15], v[16:17]
	s_mov_b32 s7, 0x3c91a626
	s_delay_alu instid0(VALU_DEP_1) | instskip(NEXT) | instid1(VALU_DEP_3)
	v_add_f64 v[14:15], v[14:15], -v[30:31]
	v_add_f64 v[30:31], v[30:31], -v[34:35]
	s_delay_alu instid0(VALU_DEP_2) | instskip(SKIP_1) | instid1(VALU_DEP_2)
	v_add_f64 v[14:15], v[14:15], v[16:17]
	v_fma_f64 v[16:17], v[22:23], s[6:7], v[16:17]
	v_add_f64 v[14:15], v[30:31], v[14:15]
	s_delay_alu instid0(VALU_DEP_1) | instskip(NEXT) | instid1(VALU_DEP_1)
	v_add_f64 v[14:15], v[14:15], -v[16:17]
	v_fma_f64 v[16:17], v[22:23], s[4:5], v[14:15]
	s_delay_alu instid0(VALU_DEP_1) | instskip(NEXT) | instid1(VALU_DEP_1)
	v_add_f64 v[14:15], v[34:35], v[16:17]
	v_add_f64 v[30:31], v[14:15], -v[34:35]
	s_delay_alu instid0(VALU_DEP_1) | instskip(SKIP_1) | instid1(SALU_CYCLE_1)
	v_add_f64 v[16:17], v[16:17], -v[30:31]
	s_or_b32 exec_lo, exec_lo, s3
	s_and_b32 vcc_lo, exec_lo, s10
	s_cbranch_vccnz .LBB0_27
.LBB0_30:
                                        ; implicit-def: $vgpr86
                                        ; implicit-def: $vgpr22_vgpr23
                                        ; implicit-def: $vgpr30_vgpr31
.LBB0_31:
	s_mov_b32 s4, 0x6dc9c883
	s_mov_b32 s5, 0x3fe45f30
	;; [unrolled: 1-line block ×3, first 2 shown]
	v_mul_f64 v[22:23], |s[30:31]|, s[4:5]
	s_mov_b32 s4, 0x54442d18
	s_mov_b32 s5, 0xbff921fb
	;; [unrolled: 1-line block ×3, first 2 shown]
	s_delay_alu instid0(VALU_DEP_1) | instskip(NEXT) | instid1(VALU_DEP_1)
	v_rndne_f64_e32 v[34:35], v[22:23]
	v_fma_f64 v[22:23], v[34:35], s[4:5], |s[30:31]|
	v_mul_f64 v[30:31], v[34:35], s[6:7]
	s_mov_b32 s4, 0x252049c0
	s_mov_b32 s5, 0xb97b839a
	v_cvt_i32_f64_e32 v86, v[34:35]
	s_delay_alu instid0(VALU_DEP_3) | instskip(NEXT) | instid1(VALU_DEP_3)
	v_fma_f64 v[38:39], v[34:35], s[6:7], v[22:23]
	v_add_f64 v[36:37], v[22:23], v[30:31]
	s_mov_b32 s7, 0x3c91a626
	s_delay_alu instid0(VALU_DEP_1) | instskip(NEXT) | instid1(VALU_DEP_3)
	v_add_f64 v[22:23], v[22:23], -v[36:37]
	v_add_f64 v[36:37], v[36:37], -v[38:39]
	s_delay_alu instid0(VALU_DEP_2) | instskip(SKIP_1) | instid1(VALU_DEP_2)
	v_add_f64 v[22:23], v[22:23], v[30:31]
	v_fma_f64 v[30:31], v[34:35], s[6:7], v[30:31]
	v_add_f64 v[22:23], v[36:37], v[22:23]
	s_delay_alu instid0(VALU_DEP_1) | instskip(NEXT) | instid1(VALU_DEP_1)
	v_add_f64 v[22:23], v[22:23], -v[30:31]
	v_fma_f64 v[30:31], v[34:35], s[4:5], v[22:23]
	s_delay_alu instid0(VALU_DEP_1) | instskip(NEXT) | instid1(VALU_DEP_1)
	v_add_f64 v[22:23], v[38:39], v[30:31]
	v_add_f64 v[36:37], v[22:23], -v[38:39]
	s_delay_alu instid0(VALU_DEP_1)
	v_add_f64 v[30:31], v[30:31], -v[36:37]
.LBB0_32:
	v_max_f64 v[34:35], |v[28:29]|, |v[28:29]|
	v_max_f64 v[36:37], |v[32:33]|, |v[32:33]|
	s_mov_b32 s4, 0xbd3237f4
	s_mov_b32 s6, 0xb5e68a13
	;; [unrolled: 1-line block ×4, first 2 shown]
	v_cmp_eq_f64_e64 s3, 0, v[28:29]
                                        ; implicit-def: $vgpr90
                                        ; implicit-def: $vgpr48_vgpr49
	s_delay_alu instid0(VALU_DEP_2) | instskip(SKIP_1) | instid1(VALU_DEP_1)
	v_max_f64 v[38:39], v[36:37], v[34:35]
	v_min_f64 v[34:35], v[36:37], v[34:35]
	v_div_scale_f64 v[36:37], null, v[38:39], v[38:39], v[34:35]
	v_div_scale_f64 v[46:47], vcc_lo, v[34:35], v[38:39], v[34:35]
	s_delay_alu instid0(VALU_DEP_2) | instskip(SKIP_2) | instid1(VALU_DEP_1)
	v_rcp_f64_e32 v[40:41], v[36:37]
	s_waitcnt_depctr 0xfff
	v_fma_f64 v[42:43], -v[36:37], v[40:41], 1.0
	v_fma_f64 v[40:41], v[40:41], v[42:43], v[40:41]
	s_delay_alu instid0(VALU_DEP_1) | instskip(NEXT) | instid1(VALU_DEP_1)
	v_fma_f64 v[42:43], -v[36:37], v[40:41], 1.0
	v_fma_f64 v[40:41], v[40:41], v[42:43], v[40:41]
	s_delay_alu instid0(VALU_DEP_1) | instskip(NEXT) | instid1(VALU_DEP_1)
	v_mul_f64 v[42:43], v[46:47], v[40:41]
	v_fma_f64 v[36:37], -v[36:37], v[42:43], v[46:47]
                                        ; implicit-def: $vgpr46_vgpr47
	s_delay_alu instid0(VALU_DEP_1) | instskip(SKIP_1) | instid1(VALU_DEP_2)
	v_div_fmas_f64 v[36:37], v[36:37], v[40:41], v[42:43]
	v_cmp_lt_f64_e64 vcc_lo, |v[32:33]|, |v[28:29]|
	v_div_fixup_f64 v[34:35], v[36:37], v[38:39], v[34:35]
	s_delay_alu instid0(VALU_DEP_1) | instskip(NEXT) | instid1(VALU_DEP_1)
	v_mul_f64 v[36:37], v[34:35], v[34:35]
	v_fma_f64 v[38:39], v[36:37], s[6:7], s[4:5]
	s_mov_b32 s4, 0x69efb384
	s_mov_b32 s5, 0x3f4b2bb0
	;; [unrolled: 1-line block ×4, first 2 shown]
	s_delay_alu instid0(VALU_DEP_1)
	v_fma_f64 v[38:39], v[36:37], v[38:39], s[4:5]
	s_mov_b32 s4, 0xaf56de9b
	s_mov_b32 s5, 0xbf67952d
	s_delay_alu instid0(VALU_DEP_1) | instid1(SALU_CYCLE_1)
	v_fma_f64 v[38:39], v[36:37], v[38:39], s[4:5]
	s_mov_b32 s4, 0xa595c56f
	s_mov_b32 s5, 0x3f7d6d43
	s_delay_alu instid0(VALU_DEP_1) | instid1(SALU_CYCLE_1)
	;; [unrolled: 4-line block ×17, first 2 shown]
	v_fma_f64 v[38:39], v[36:37], v[38:39], s[4:5]
	s_mov_b32 s5, 0x400921fb
	s_mov_b32 s4, s6
	s_delay_alu instid0(VALU_DEP_1) | instskip(SKIP_1) | instid1(VALU_DEP_2)
	v_mul_f64 v[36:37], v[36:37], v[38:39]
	v_ashrrev_i32_e32 v39, 31, v33
	v_fma_f64 v[34:35], v[34:35], v[36:37], v[34:35]
	s_delay_alu instid0(VALU_DEP_1) | instskip(NEXT) | instid1(VALU_DEP_1)
	v_add_f64 v[36:37], -v[34:35], s[6:7]
	v_dual_cndmask_b32 v35, v35, v37 :: v_dual_cndmask_b32 v34, v34, v36
	v_cmp_gt_i32_e32 vcc_lo, 0, v33
	s_delay_alu instid0(VALU_DEP_2) | instskip(SKIP_2) | instid1(VALU_DEP_3)
	v_add_f64 v[36:37], -v[34:35], s[4:5]
	v_cmp_class_f64_e64 s4, v[28:29], 0x204
	v_cmp_class_f64_e64 s5, v[32:33], 0x204
	v_dual_mov_b32 v38, 0x7f3321d2 :: v_dual_cndmask_b32 v35, v35, v37
	s_delay_alu instid0(VALU_DEP_4) | instskip(SKIP_1) | instid1(VALU_DEP_3)
	v_cndmask_b32_e32 v34, v34, v36, vcc_lo
	v_mov_b32_e32 v36, 0x4002d97c
	v_cndmask_b32_e32 v38, 0x54442d18, v38, vcc_lo
	s_delay_alu instid0(VALU_DEP_2) | instskip(SKIP_3) | instid1(VALU_DEP_3)
	v_cndmask_b32_e32 v36, 0x3fe921fb, v36, vcc_lo
	s_and_b32 vcc_lo, s4, s5
	v_and_b32_e32 v40, 0x54442d18, v39
	v_and_b32_e32 v39, 0x400921fb, v39
	v_bfi_b32 v36, 0x7fffffff, v36, v29
	s_delay_alu instid0(VALU_DEP_3) | instskip(NEXT) | instid1(VALU_DEP_3)
	v_cndmask_b32_e64 v34, v34, v40, s3
	v_cndmask_b32_e64 v35, v35, v39, s3
	v_cmp_u_f64_e64 s3, v[32:33], v[28:29]
	s_delay_alu instid0(VALU_DEP_2) | instskip(NEXT) | instid1(VALU_DEP_1)
	v_dual_cndmask_b32 v93, v34, v38 :: v_dual_cndmask_b32 v92, v35, v36
	v_and_b32_e32 v35, 0x7fffffff, v92
	s_delay_alu instid0(VALU_DEP_1) | instskip(NEXT) | instid1(VALU_DEP_3)
	v_cndmask_b32_e64 v57, v35, 0x7ff80000, s3
	v_cndmask_b32_e64 v56, v93, 0, s3
	s_delay_alu instid0(VALU_DEP_1)
	v_cmp_ngt_f64_e64 s4, 0x41d00000, v[56:57]
	v_trig_preop_f64 v[74:75], v[56:57], 0
	v_trig_preop_f64 v[72:73], v[56:57], 1
	v_ldexp_f64 v[76:77], v[56:57], 0xffffff80
	v_trig_preop_f64 v[70:71], v[56:57], 2
	s_and_saveexec_b32 s5, s4
	s_delay_alu instid0(SALU_CYCLE_1)
	s_xor_b32 s12, exec_lo, s5
	s_cbranch_execz .LBB0_36
; %bb.33:
	v_cmp_le_f64_e32 vcc_lo, 0x7b000000, v[56:57]
	v_mov_b32_e32 v62, 0
	s_mov_b32 s14, 0x33145c07
	s_mov_b32 s15, 0x3c91a626
	s_delay_alu instid0(VALU_DEP_4) | instskip(NEXT) | instid1(VALU_DEP_1)
	v_dual_cndmask_b32 v33, v57, v77 :: v_dual_cndmask_b32 v32, v56, v76
	v_mul_f64 v[34:35], v[74:75], v[32:33]
	v_mul_f64 v[36:37], v[72:73], v[32:33]
	v_mul_f64 v[58:59], v[70:71], v[32:33]
	s_delay_alu instid0(VALU_DEP_3) | instskip(NEXT) | instid1(VALU_DEP_3)
	v_fma_f64 v[38:39], v[74:75], v[32:33], -v[34:35]
	v_fma_f64 v[60:61], v[72:73], v[32:33], -v[36:37]
	s_delay_alu instid0(VALU_DEP_3) | instskip(NEXT) | instid1(VALU_DEP_3)
	v_fma_f64 v[32:33], v[70:71], v[32:33], -v[58:59]
	v_add_f64 v[40:41], v[36:37], v[38:39]
	s_delay_alu instid0(VALU_DEP_1) | instskip(SKIP_1) | instid1(VALU_DEP_2)
	v_add_f64 v[42:43], v[40:41], -v[36:37]
	v_add_f64 v[48:49], v[34:35], v[40:41]
	v_add_f64 v[46:47], v[40:41], -v[42:43]
	v_add_f64 v[38:39], v[38:39], -v[42:43]
	s_delay_alu instid0(VALU_DEP_3) | instskip(SKIP_1) | instid1(VALU_DEP_4)
	v_ldexp_f64 v[42:43], v[48:49], -2
	v_add_f64 v[34:35], v[48:49], -v[34:35]
	v_add_f64 v[36:37], v[36:37], -v[46:47]
	v_add_f64 v[46:47], v[58:59], v[60:61]
	s_delay_alu instid0(VALU_DEP_4) | instskip(NEXT) | instid1(VALU_DEP_4)
	v_cmp_neq_f64_e64 vcc_lo, 0x7ff00000, |v[42:43]|
	v_add_f64 v[34:35], v[40:41], -v[34:35]
	s_delay_alu instid0(VALU_DEP_4) | instskip(SKIP_1) | instid1(VALU_DEP_2)
	v_add_f64 v[36:37], v[38:39], v[36:37]
	v_fract_f64_e32 v[38:39], v[42:43]
	v_add_f64 v[40:41], v[46:47], v[36:37]
	s_delay_alu instid0(VALU_DEP_2) | instskip(NEXT) | instid1(VALU_DEP_1)
	v_dual_cndmask_b32 v39, 0, v39 :: v_dual_cndmask_b32 v38, 0, v38
	v_ldexp_f64 v[38:39], v[38:39], 2
	s_delay_alu instid0(VALU_DEP_3) | instskip(NEXT) | instid1(VALU_DEP_1)
	v_add_f64 v[42:43], v[34:35], v[40:41]
	v_add_f64 v[48:49], v[42:43], v[38:39]
	v_add_f64 v[34:35], v[42:43], -v[34:35]
	s_delay_alu instid0(VALU_DEP_2) | instskip(SKIP_1) | instid1(VALU_DEP_3)
	v_cmp_gt_f64_e32 vcc_lo, 0, v[48:49]
	v_add_f64 v[48:49], v[46:47], -v[58:59]
	v_add_f64 v[34:35], v[40:41], -v[34:35]
	v_cndmask_b32_e64 v63, 0, 0x40100000, vcc_lo
	s_delay_alu instid0(VALU_DEP_3) | instskip(SKIP_1) | instid1(VALU_DEP_3)
	v_add_f64 v[67:68], v[46:47], -v[48:49]
	v_add_f64 v[48:49], v[60:61], -v[48:49]
	v_add_f64 v[38:39], v[38:39], v[62:63]
	v_add_f64 v[63:64], v[40:41], -v[46:47]
	s_delay_alu instid0(VALU_DEP_4) | instskip(NEXT) | instid1(VALU_DEP_3)
	v_add_f64 v[60:61], v[58:59], -v[67:68]
	v_add_f64 v[65:66], v[42:43], v[38:39]
	s_delay_alu instid0(VALU_DEP_3) | instskip(SKIP_1) | instid1(VALU_DEP_4)
	v_add_f64 v[78:79], v[40:41], -v[63:64]
	v_add_f64 v[36:37], v[36:37], -v[63:64]
	v_add_f64 v[48:49], v[48:49], v[60:61]
	s_delay_alu instid0(VALU_DEP_4) | instskip(NEXT) | instid1(VALU_DEP_4)
	v_cvt_i32_f64_e32 v65, v[65:66]
	v_add_f64 v[46:47], v[46:47], -v[78:79]
	s_delay_alu instid0(VALU_DEP_2) | instskip(NEXT) | instid1(VALU_DEP_2)
	v_cvt_f64_i32_e32 v[63:64], v65
	v_add_f64 v[36:37], v[36:37], v[46:47]
	s_delay_alu instid0(VALU_DEP_2) | instskip(NEXT) | instid1(VALU_DEP_2)
	v_add_f64 v[38:39], v[38:39], -v[63:64]
	v_add_f64 v[36:37], v[48:49], v[36:37]
	s_delay_alu instid0(VALU_DEP_2) | instskip(NEXT) | instid1(VALU_DEP_2)
	v_add_f64 v[46:47], v[42:43], v[38:39]
	v_add_f64 v[32:33], v[32:33], v[36:37]
	s_delay_alu instid0(VALU_DEP_2) | instskip(SKIP_1) | instid1(VALU_DEP_3)
	v_add_f64 v[36:37], v[46:47], -v[38:39]
	v_cmp_le_f64_e32 vcc_lo, 0.5, v[46:47]
	v_add_f64 v[32:33], v[34:35], v[32:33]
	s_delay_alu instid0(VALU_DEP_3) | instskip(SKIP_2) | instid1(VALU_DEP_3)
	v_add_f64 v[34:35], v[42:43], -v[36:37]
	v_cndmask_b32_e64 v63, 0, 0x3ff00000, vcc_lo
	v_add_co_ci_u32_e64 v90, s5, 0, v65, vcc_lo
	v_add_f64 v[32:33], v[32:33], v[34:35]
	s_delay_alu instid0(VALU_DEP_3) | instskip(NEXT) | instid1(VALU_DEP_1)
	v_add_f64 v[34:35], v[46:47], -v[62:63]
	v_add_f64 v[36:37], v[34:35], v[32:33]
	s_delay_alu instid0(VALU_DEP_1) | instskip(SKIP_1) | instid1(VALU_DEP_2)
	v_mul_f64 v[38:39], v[36:37], s[6:7]
	v_add_f64 v[34:35], v[36:37], -v[34:35]
	v_fma_f64 v[40:41], v[36:37], s[6:7], -v[38:39]
	s_delay_alu instid0(VALU_DEP_2) | instskip(NEXT) | instid1(VALU_DEP_2)
	v_add_f64 v[32:33], v[32:33], -v[34:35]
	v_fma_f64 v[34:35], v[36:37], s[14:15], v[40:41]
	s_delay_alu instid0(VALU_DEP_1) | instskip(NEXT) | instid1(VALU_DEP_1)
	v_fma_f64 v[32:33], v[32:33], s[6:7], v[34:35]
	v_add_f64 v[46:47], v[38:39], v[32:33]
	s_delay_alu instid0(VALU_DEP_1) | instskip(NEXT) | instid1(VALU_DEP_1)
	v_add_f64 v[34:35], v[46:47], -v[38:39]
	v_add_f64 v[48:49], v[32:33], -v[34:35]
	s_and_not1_saveexec_b32 s5, s12
	s_cbranch_execnz .LBB0_37
.LBB0_34:
	s_or_b32 exec_lo, exec_lo, s5
	s_delay_alu instid0(SALU_CYCLE_1)
	s_and_b32 vcc_lo, exec_lo, s10
	s_cbranch_vccz .LBB0_38
.LBB0_35:
	v_cmp_le_f64_e64 vcc_lo, 0x7b000000, |s[30:31]|
	s_and_b32 s5, s31, 0x7fffffff
	s_mov_b32 s6, 0
	s_mov_b32 s12, 0x54442d18
	;; [unrolled: 1-line block ×5, first 2 shown]
	v_cndmask_b32_e32 v33, s5, v21, vcc_lo
	v_cndmask_b32_e32 v32, s30, v20, vcc_lo
	s_delay_alu instid0(VALU_DEP_1) | instskip(SKIP_2) | instid1(VALU_DEP_3)
	v_mul_f64 v[34:35], v[18:19], v[32:33]
	v_mul_f64 v[36:37], v[8:9], v[32:33]
	;; [unrolled: 1-line block ×3, first 2 shown]
	v_fma_f64 v[38:39], v[18:19], v[32:33], -v[34:35]
	s_delay_alu instid0(VALU_DEP_3) | instskip(NEXT) | instid1(VALU_DEP_3)
	v_fma_f64 v[64:65], v[8:9], v[32:33], -v[36:37]
	v_fma_f64 v[32:33], v[6:7], v[32:33], -v[62:63]
	s_delay_alu instid0(VALU_DEP_3) | instskip(NEXT) | instid1(VALU_DEP_1)
	v_add_f64 v[40:41], v[36:37], v[38:39]
	v_add_f64 v[42:43], v[40:41], -v[36:37]
	v_add_f64 v[60:61], v[34:35], v[40:41]
	s_delay_alu instid0(VALU_DEP_2) | instskip(SKIP_1) | instid1(VALU_DEP_3)
	v_add_f64 v[58:59], v[40:41], -v[42:43]
	v_add_f64 v[38:39], v[38:39], -v[42:43]
	v_ldexp_f64 v[42:43], v[60:61], -2
	v_add_f64 v[34:35], v[60:61], -v[34:35]
	s_delay_alu instid0(VALU_DEP_4) | instskip(SKIP_1) | instid1(VALU_DEP_4)
	v_add_f64 v[36:37], v[36:37], -v[58:59]
	v_add_f64 v[58:59], v[62:63], v[64:65]
	v_cmp_neq_f64_e64 vcc_lo, 0x7ff00000, |v[42:43]|
	s_delay_alu instid0(VALU_DEP_4) | instskip(NEXT) | instid1(VALU_DEP_4)
	v_add_f64 v[34:35], v[40:41], -v[34:35]
	v_add_f64 v[36:37], v[38:39], v[36:37]
	v_fract_f64_e32 v[38:39], v[42:43]
	s_delay_alu instid0(VALU_DEP_2) | instskip(NEXT) | instid1(VALU_DEP_2)
	v_add_f64 v[40:41], v[58:59], v[36:37]
	v_dual_cndmask_b32 v39, 0, v39 :: v_dual_cndmask_b32 v38, 0, v38
	s_delay_alu instid0(VALU_DEP_1) | instskip(NEXT) | instid1(VALU_DEP_3)
	v_ldexp_f64 v[38:39], v[38:39], 2
	v_add_f64 v[42:43], v[34:35], v[40:41]
	v_add_f64 v[66:67], v[40:41], -v[58:59]
	s_delay_alu instid0(VALU_DEP_2) | instskip(NEXT) | instid1(VALU_DEP_2)
	v_add_f64 v[60:61], v[42:43], v[38:39]
	v_add_f64 v[80:81], v[40:41], -v[66:67]
	v_add_f64 v[36:37], v[36:37], -v[66:67]
	;; [unrolled: 1-line block ×3, first 2 shown]
	s_delay_alu instid0(VALU_DEP_4) | instskip(SKIP_1) | instid1(VALU_DEP_3)
	v_cmp_gt_f64_e32 vcc_lo, 0, v[60:61]
	v_add_f64 v[60:61], v[58:59], -v[62:63]
	v_add_f64 v[34:35], v[40:41], -v[34:35]
	s_and_b32 s5, vcc_lo, exec_lo
	s_cselect_b32 s7, 0x40100000, 0
	s_delay_alu instid0(VALU_DEP_2) | instskip(SKIP_3) | instid1(VALU_DEP_4)
	v_add_f64 v[78:79], v[58:59], -v[60:61]
	v_add_f64 v[38:39], v[38:39], s[6:7]
	v_add_f64 v[60:61], v[64:65], -v[60:61]
	v_add_f64 v[58:59], v[58:59], -v[80:81]
	;; [unrolled: 1-line block ×3, first 2 shown]
	s_delay_alu instid0(VALU_DEP_4) | instskip(NEXT) | instid1(VALU_DEP_3)
	v_add_f64 v[68:69], v[42:43], v[38:39]
	v_add_f64 v[36:37], v[36:37], v[58:59]
	s_delay_alu instid0(VALU_DEP_3) | instskip(NEXT) | instid1(VALU_DEP_3)
	v_add_f64 v[60:61], v[60:61], v[64:65]
	v_cvt_i32_f64_e32 v68, v[68:69]
	s_delay_alu instid0(VALU_DEP_2) | instskip(NEXT) | instid1(VALU_DEP_2)
	v_add_f64 v[36:37], v[60:61], v[36:37]
	v_cvt_f64_i32_e32 v[66:67], v68
	s_delay_alu instid0(VALU_DEP_2) | instskip(NEXT) | instid1(VALU_DEP_2)
	v_add_f64 v[32:33], v[32:33], v[36:37]
	v_add_f64 v[38:39], v[38:39], -v[66:67]
	s_delay_alu instid0(VALU_DEP_2) | instskip(NEXT) | instid1(VALU_DEP_2)
	v_add_f64 v[32:33], v[34:35], v[32:33]
	v_add_f64 v[58:59], v[42:43], v[38:39]
	s_delay_alu instid0(VALU_DEP_1) | instskip(SKIP_1) | instid1(VALU_DEP_2)
	v_add_f64 v[36:37], v[58:59], -v[38:39]
	v_cmp_le_f64_e32 vcc_lo, 0.5, v[58:59]
	v_add_f64 v[34:35], v[42:43], -v[36:37]
	s_and_b32 s5, vcc_lo, exec_lo
	s_cselect_b32 s7, 0x3ff00000, 0
	v_add_co_ci_u32_e64 v87, s5, 0, v68, vcc_lo
	s_delay_alu instid0(VALU_DEP_2) | instskip(SKIP_1) | instid1(VALU_DEP_1)
	v_add_f64 v[32:33], v[32:33], v[34:35]
	v_add_f64 v[34:35], v[58:59], -s[6:7]
	v_add_f64 v[36:37], v[34:35], v[32:33]
	s_delay_alu instid0(VALU_DEP_1) | instskip(SKIP_1) | instid1(VALU_DEP_2)
	v_mul_f64 v[38:39], v[36:37], s[12:13]
	v_add_f64 v[34:35], v[36:37], -v[34:35]
	v_fma_f64 v[40:41], v[36:37], s[12:13], -v[38:39]
	s_delay_alu instid0(VALU_DEP_2) | instskip(NEXT) | instid1(VALU_DEP_2)
	v_add_f64 v[32:33], v[32:33], -v[34:35]
	v_fma_f64 v[34:35], v[36:37], s[14:15], v[40:41]
	s_delay_alu instid0(VALU_DEP_1) | instskip(NEXT) | instid1(VALU_DEP_1)
	v_fma_f64 v[34:35], v[32:33], s[12:13], v[34:35]
	v_add_f64 v[32:33], v[38:39], v[34:35]
	s_delay_alu instid0(VALU_DEP_1) | instskip(NEXT) | instid1(VALU_DEP_1)
	v_add_f64 v[36:37], v[32:33], -v[38:39]
	v_add_f64 v[34:35], v[34:35], -v[36:37]
	s_cbranch_execz .LBB0_39
	s_branch .LBB0_40
.LBB0_36:
	s_and_not1_saveexec_b32 s5, s12
	s_cbranch_execz .LBB0_34
.LBB0_37:
	s_mov_b32 s6, 0x6dc9c883
	s_mov_b32 s7, 0x3fe45f30
	;; [unrolled: 1-line block ×3, first 2 shown]
	v_mul_f64 v[32:33], v[56:57], s[6:7]
	s_mov_b32 s6, 0x54442d18
	s_mov_b32 s7, 0xbff921fb
	;; [unrolled: 1-line block ×3, first 2 shown]
	s_delay_alu instid0(VALU_DEP_1) | instskip(NEXT) | instid1(VALU_DEP_1)
	v_rndne_f64_e32 v[32:33], v[32:33]
	v_fma_f64 v[34:35], v[32:33], s[6:7], v[56:57]
	v_mul_f64 v[36:37], v[32:33], s[12:13]
	s_mov_b32 s6, 0x252049c0
	s_mov_b32 s7, 0xb97b839a
	v_cvt_i32_f64_e32 v90, v[32:33]
	s_delay_alu instid0(VALU_DEP_3) | instskip(NEXT) | instid1(VALU_DEP_3)
	v_fma_f64 v[40:41], v[32:33], s[12:13], v[34:35]
	v_add_f64 v[38:39], v[34:35], v[36:37]
	s_mov_b32 s13, 0x3c91a626
	s_delay_alu instid0(VALU_DEP_1) | instskip(NEXT) | instid1(VALU_DEP_3)
	v_add_f64 v[34:35], v[34:35], -v[38:39]
	v_add_f64 v[38:39], v[38:39], -v[40:41]
	s_delay_alu instid0(VALU_DEP_2) | instskip(SKIP_1) | instid1(VALU_DEP_2)
	v_add_f64 v[34:35], v[34:35], v[36:37]
	v_fma_f64 v[36:37], v[32:33], s[12:13], v[36:37]
	v_add_f64 v[34:35], v[38:39], v[34:35]
	s_delay_alu instid0(VALU_DEP_1) | instskip(NEXT) | instid1(VALU_DEP_1)
	v_add_f64 v[34:35], v[34:35], -v[36:37]
	v_fma_f64 v[34:35], v[32:33], s[6:7], v[34:35]
	s_delay_alu instid0(VALU_DEP_1) | instskip(NEXT) | instid1(VALU_DEP_1)
	v_add_f64 v[46:47], v[40:41], v[34:35]
	v_add_f64 v[36:37], v[46:47], -v[40:41]
	s_delay_alu instid0(VALU_DEP_1) | instskip(SKIP_1) | instid1(SALU_CYCLE_1)
	v_add_f64 v[48:49], v[34:35], -v[36:37]
	s_or_b32 exec_lo, exec_lo, s5
	s_and_b32 vcc_lo, exec_lo, s10
	s_cbranch_vccnz .LBB0_35
.LBB0_38:
                                        ; implicit-def: $vgpr87
                                        ; implicit-def: $vgpr32_vgpr33
                                        ; implicit-def: $vgpr34_vgpr35
.LBB0_39:
	s_mov_b32 s6, 0x6dc9c883
	s_mov_b32 s7, 0x3fe45f30
	;; [unrolled: 1-line block ×3, first 2 shown]
	v_mul_f64 v[32:33], |s[30:31]|, s[6:7]
	s_mov_b32 s6, 0x54442d18
	s_mov_b32 s7, 0xbff921fb
	;; [unrolled: 1-line block ×3, first 2 shown]
	s_delay_alu instid0(VALU_DEP_1) | instskip(NEXT) | instid1(VALU_DEP_1)
	v_rndne_f64_e32 v[36:37], v[32:33]
	v_fma_f64 v[32:33], v[36:37], s[6:7], |s[30:31]|
	v_mul_f64 v[34:35], v[36:37], s[12:13]
	s_mov_b32 s6, 0x252049c0
	s_mov_b32 s7, 0xb97b839a
	v_cvt_i32_f64_e32 v87, v[36:37]
	s_delay_alu instid0(VALU_DEP_3) | instskip(NEXT) | instid1(VALU_DEP_3)
	v_fma_f64 v[40:41], v[36:37], s[12:13], v[32:33]
	v_add_f64 v[38:39], v[32:33], v[34:35]
	s_mov_b32 s13, 0x3c91a626
	s_delay_alu instid0(VALU_DEP_1) | instskip(NEXT) | instid1(VALU_DEP_3)
	v_add_f64 v[32:33], v[32:33], -v[38:39]
	v_add_f64 v[38:39], v[38:39], -v[40:41]
	s_delay_alu instid0(VALU_DEP_2) | instskip(SKIP_1) | instid1(VALU_DEP_2)
	v_add_f64 v[32:33], v[32:33], v[34:35]
	v_fma_f64 v[34:35], v[36:37], s[12:13], v[34:35]
	v_add_f64 v[32:33], v[38:39], v[32:33]
	s_delay_alu instid0(VALU_DEP_1) | instskip(NEXT) | instid1(VALU_DEP_1)
	v_add_f64 v[32:33], v[32:33], -v[34:35]
	v_fma_f64 v[34:35], v[36:37], s[6:7], v[32:33]
	s_delay_alu instid0(VALU_DEP_1) | instskip(NEXT) | instid1(VALU_DEP_1)
	v_add_f64 v[32:33], v[40:41], v[34:35]
	v_add_f64 v[38:39], v[32:33], -v[40:41]
	s_delay_alu instid0(VALU_DEP_1)
	v_add_f64 v[34:35], v[34:35], -v[38:39]
.LBB0_40:
                                        ; implicit-def: $vgpr88
                                        ; implicit-def: $vgpr36_vgpr37
                                        ; implicit-def: $vgpr38_vgpr39
	s_and_saveexec_b32 s5, s11
	s_delay_alu instid0(SALU_CYCLE_1)
	s_xor_b32 s6, exec_lo, s5
	s_cbranch_execz .LBB0_42
; %bb.41:
	v_cmp_le_f64_e64 vcc_lo, 0x7b000000, |v[4:5]|
	v_mov_b32_e32 v78, 0
	s_mov_b32 s12, 0x54442d18
	s_mov_b32 s13, 0x3ff921fb
	;; [unrolled: 1-line block ×4, first 2 shown]
	v_dual_cndmask_b32 v37, v91, v55 :: v_dual_cndmask_b32 v36, v4, v54
	s_delay_alu instid0(VALU_DEP_1) | instskip(SKIP_2) | instid1(VALU_DEP_3)
	v_mul_f64 v[38:39], v[52:53], v[36:37]
	v_mul_f64 v[40:41], v[50:51], v[36:37]
	;; [unrolled: 1-line block ×3, first 2 shown]
	v_fma_f64 v[42:43], v[52:53], v[36:37], -v[38:39]
	s_delay_alu instid0(VALU_DEP_3) | instskip(NEXT) | instid1(VALU_DEP_3)
	v_fma_f64 v[68:69], v[50:51], v[36:37], -v[40:41]
	v_fma_f64 v[36:37], v[44:45], v[36:37], -v[66:67]
	s_delay_alu instid0(VALU_DEP_3) | instskip(NEXT) | instid1(VALU_DEP_1)
	v_add_f64 v[58:59], v[40:41], v[42:43]
	v_add_f64 v[60:61], v[58:59], -v[40:41]
	v_add_f64 v[64:65], v[38:39], v[58:59]
	s_delay_alu instid0(VALU_DEP_2) | instskip(SKIP_1) | instid1(VALU_DEP_3)
	v_add_f64 v[62:63], v[58:59], -v[60:61]
	v_add_f64 v[42:43], v[42:43], -v[60:61]
	v_ldexp_f64 v[60:61], v[64:65], -2
	v_add_f64 v[38:39], v[64:65], -v[38:39]
	s_delay_alu instid0(VALU_DEP_4) | instskip(SKIP_1) | instid1(VALU_DEP_4)
	v_add_f64 v[40:41], v[40:41], -v[62:63]
	v_add_f64 v[62:63], v[66:67], v[68:69]
	v_cmp_neq_f64_e64 vcc_lo, 0x7ff00000, |v[60:61]|
	s_delay_alu instid0(VALU_DEP_4) | instskip(NEXT) | instid1(VALU_DEP_4)
	v_add_f64 v[38:39], v[58:59], -v[38:39]
	v_add_f64 v[40:41], v[42:43], v[40:41]
	v_fract_f64_e32 v[42:43], v[60:61]
	s_delay_alu instid0(VALU_DEP_2) | instskip(NEXT) | instid1(VALU_DEP_2)
	v_add_f64 v[58:59], v[62:63], v[40:41]
	v_dual_cndmask_b32 v43, 0, v43 :: v_dual_cndmask_b32 v42, 0, v42
	s_delay_alu instid0(VALU_DEP_1) | instskip(NEXT) | instid1(VALU_DEP_3)
	v_ldexp_f64 v[42:43], v[42:43], 2
	v_add_f64 v[60:61], v[38:39], v[58:59]
	s_delay_alu instid0(VALU_DEP_1) | instskip(SKIP_1) | instid1(VALU_DEP_2)
	v_add_f64 v[64:65], v[60:61], v[42:43]
	v_add_f64 v[38:39], v[60:61], -v[38:39]
	v_cmp_gt_f64_e32 vcc_lo, 0, v[64:65]
	v_add_f64 v[64:65], v[62:63], -v[66:67]
	s_delay_alu instid0(VALU_DEP_3) | instskip(SKIP_1) | instid1(VALU_DEP_3)
	v_add_f64 v[38:39], v[58:59], -v[38:39]
	v_cndmask_b32_e64 v79, 0, 0x40100000, vcc_lo
	v_add_f64 v[88:89], v[62:63], -v[64:65]
	v_add_f64 v[64:65], v[68:69], -v[64:65]
	s_delay_alu instid0(VALU_DEP_3) | instskip(SKIP_1) | instid1(VALU_DEP_4)
	v_add_f64 v[42:43], v[42:43], v[78:79]
	v_add_f64 v[79:80], v[58:59], -v[62:63]
	v_add_f64 v[68:69], v[66:67], -v[88:89]
	s_delay_alu instid0(VALU_DEP_3) | instskip(NEXT) | instid1(VALU_DEP_3)
	v_add_f64 v[81:82], v[60:61], v[42:43]
	v_add_f64 v[94:95], v[58:59], -v[79:80]
	v_add_f64 v[40:41], v[40:41], -v[79:80]
	s_delay_alu instid0(VALU_DEP_4) | instskip(NEXT) | instid1(VALU_DEP_4)
	v_add_f64 v[64:65], v[64:65], v[68:69]
	v_cvt_i32_f64_e32 v81, v[81:82]
	s_delay_alu instid0(VALU_DEP_4) | instskip(NEXT) | instid1(VALU_DEP_2)
	v_add_f64 v[62:63], v[62:63], -v[94:95]
	v_cvt_f64_i32_e32 v[79:80], v81
	s_delay_alu instid0(VALU_DEP_2) | instskip(NEXT) | instid1(VALU_DEP_2)
	v_add_f64 v[40:41], v[40:41], v[62:63]
	v_add_f64 v[42:43], v[42:43], -v[79:80]
	s_delay_alu instid0(VALU_DEP_2) | instskip(NEXT) | instid1(VALU_DEP_2)
	v_add_f64 v[40:41], v[64:65], v[40:41]
	v_add_f64 v[62:63], v[60:61], v[42:43]
	s_delay_alu instid0(VALU_DEP_2) | instskip(NEXT) | instid1(VALU_DEP_2)
	v_add_f64 v[36:37], v[36:37], v[40:41]
	v_add_f64 v[40:41], v[62:63], -v[42:43]
	v_cmp_le_f64_e32 vcc_lo, 0.5, v[62:63]
	s_delay_alu instid0(VALU_DEP_3) | instskip(NEXT) | instid1(VALU_DEP_3)
	v_add_f64 v[36:37], v[38:39], v[36:37]
	v_add_f64 v[38:39], v[60:61], -v[40:41]
	v_cndmask_b32_e64 v79, 0, 0x3ff00000, vcc_lo
	v_add_co_ci_u32_e64 v88, s5, 0, v81, vcc_lo
	s_delay_alu instid0(VALU_DEP_3) | instskip(NEXT) | instid1(VALU_DEP_3)
	v_add_f64 v[36:37], v[36:37], v[38:39]
	v_add_f64 v[38:39], v[62:63], -v[78:79]
	s_delay_alu instid0(VALU_DEP_1) | instskip(NEXT) | instid1(VALU_DEP_1)
	v_add_f64 v[40:41], v[38:39], v[36:37]
	v_mul_f64 v[42:43], v[40:41], s[12:13]
	v_add_f64 v[38:39], v[40:41], -v[38:39]
	s_delay_alu instid0(VALU_DEP_2) | instskip(NEXT) | instid1(VALU_DEP_2)
	v_fma_f64 v[58:59], v[40:41], s[12:13], -v[42:43]
	v_add_f64 v[36:37], v[36:37], -v[38:39]
	s_delay_alu instid0(VALU_DEP_2) | instskip(NEXT) | instid1(VALU_DEP_1)
	v_fma_f64 v[38:39], v[40:41], s[14:15], v[58:59]
	v_fma_f64 v[38:39], v[36:37], s[12:13], v[38:39]
	s_delay_alu instid0(VALU_DEP_1) | instskip(NEXT) | instid1(VALU_DEP_1)
	v_add_f64 v[36:37], v[42:43], v[38:39]
	v_add_f64 v[40:41], v[36:37], -v[42:43]
	s_delay_alu instid0(VALU_DEP_1)
	v_add_f64 v[38:39], v[38:39], -v[40:41]
	s_and_not1_saveexec_b32 s5, s6
	s_cbranch_execz .LBB0_44
	s_branch .LBB0_43
.LBB0_42:
	s_and_not1_saveexec_b32 s5, s6
	s_cbranch_execz .LBB0_44
.LBB0_43:
	s_mov_b32 s6, 0x6dc9c883
	s_mov_b32 s7, 0x3fe45f30
	;; [unrolled: 1-line block ×3, first 2 shown]
	v_mul_f64 v[36:37], |v[4:5]|, s[6:7]
	s_mov_b32 s6, 0x54442d18
	s_mov_b32 s7, 0xbff921fb
	;; [unrolled: 1-line block ×3, first 2 shown]
	s_delay_alu instid0(VALU_DEP_1) | instskip(NEXT) | instid1(VALU_DEP_1)
	v_rndne_f64_e32 v[40:41], v[36:37]
	v_fma_f64 v[36:37], v[40:41], s[6:7], |v[4:5]|
	v_mul_f64 v[38:39], v[40:41], s[12:13]
	s_mov_b32 s6, 0x252049c0
	s_mov_b32 s7, 0xb97b839a
	v_cvt_i32_f64_e32 v88, v[40:41]
	s_delay_alu instid0(VALU_DEP_3) | instskip(NEXT) | instid1(VALU_DEP_3)
	v_fma_f64 v[58:59], v[40:41], s[12:13], v[36:37]
	v_add_f64 v[42:43], v[36:37], v[38:39]
	s_mov_b32 s13, 0x3c91a626
	s_delay_alu instid0(VALU_DEP_1) | instskip(NEXT) | instid1(VALU_DEP_3)
	v_add_f64 v[36:37], v[36:37], -v[42:43]
	v_add_f64 v[42:43], v[42:43], -v[58:59]
	s_delay_alu instid0(VALU_DEP_2) | instskip(SKIP_1) | instid1(VALU_DEP_2)
	v_add_f64 v[36:37], v[36:37], v[38:39]
	v_fma_f64 v[38:39], v[40:41], s[12:13], v[38:39]
	v_add_f64 v[36:37], v[42:43], v[36:37]
	s_delay_alu instid0(VALU_DEP_1) | instskip(NEXT) | instid1(VALU_DEP_1)
	v_add_f64 v[36:37], v[36:37], -v[38:39]
	v_fma_f64 v[38:39], v[40:41], s[6:7], v[36:37]
	s_delay_alu instid0(VALU_DEP_1) | instskip(NEXT) | instid1(VALU_DEP_1)
	v_add_f64 v[36:37], v[58:59], v[38:39]
	v_add_f64 v[42:43], v[36:37], -v[58:59]
	s_delay_alu instid0(VALU_DEP_1)
	v_add_f64 v[38:39], v[38:39], -v[42:43]
.LBB0_44:
	s_or_b32 exec_lo, exec_lo, s5
                                        ; implicit-def: $vgpr89
                                        ; implicit-def: $vgpr40_vgpr41
                                        ; implicit-def: $vgpr42_vgpr43
	s_and_saveexec_b32 s5, s11
	s_delay_alu instid0(SALU_CYCLE_1)
	s_xor_b32 s6, exec_lo, s5
	s_cbranch_execz .LBB0_48
; %bb.45:
	v_cmp_le_f64_e64 vcc_lo, 0x7b000000, |v[4:5]|
	v_mov_b32_e32 v82, 0
	s_mov_b32 s12, 0x54442d18
	s_mov_b32 s13, 0x3ff921fb
	;; [unrolled: 1-line block ×4, first 2 shown]
	v_dual_cndmask_b32 v41, v91, v55 :: v_dual_cndmask_b32 v40, v4, v54
	s_delay_alu instid0(VALU_DEP_1) | instskip(SKIP_2) | instid1(VALU_DEP_3)
	v_mul_f64 v[42:43], v[52:53], v[40:41]
	v_mul_f64 v[58:59], v[50:51], v[40:41]
	;; [unrolled: 1-line block ×3, first 2 shown]
	v_fma_f64 v[60:61], v[52:53], v[40:41], -v[42:43]
	s_delay_alu instid0(VALU_DEP_3) | instskip(NEXT) | instid1(VALU_DEP_3)
	v_fma_f64 v[80:81], v[50:51], v[40:41], -v[58:59]
	v_fma_f64 v[40:41], v[44:45], v[40:41], -v[78:79]
	s_delay_alu instid0(VALU_DEP_3) | instskip(NEXT) | instid1(VALU_DEP_1)
	v_add_f64 v[62:63], v[58:59], v[60:61]
	v_add_f64 v[64:65], v[62:63], -v[58:59]
	v_add_f64 v[68:69], v[42:43], v[62:63]
	s_delay_alu instid0(VALU_DEP_2) | instskip(SKIP_1) | instid1(VALU_DEP_3)
	v_add_f64 v[66:67], v[62:63], -v[64:65]
	v_add_f64 v[60:61], v[60:61], -v[64:65]
	v_ldexp_f64 v[64:65], v[68:69], -2
	v_add_f64 v[42:43], v[68:69], -v[42:43]
	s_delay_alu instid0(VALU_DEP_4) | instskip(SKIP_1) | instid1(VALU_DEP_4)
	v_add_f64 v[58:59], v[58:59], -v[66:67]
	v_add_f64 v[66:67], v[78:79], v[80:81]
	v_cmp_neq_f64_e64 vcc_lo, 0x7ff00000, |v[64:65]|
	s_delay_alu instid0(VALU_DEP_4) | instskip(NEXT) | instid1(VALU_DEP_4)
	v_add_f64 v[42:43], v[62:63], -v[42:43]
	v_add_f64 v[58:59], v[60:61], v[58:59]
	v_fract_f64_e32 v[60:61], v[64:65]
	s_delay_alu instid0(VALU_DEP_2) | instskip(NEXT) | instid1(VALU_DEP_2)
	v_add_f64 v[62:63], v[66:67], v[58:59]
	v_dual_cndmask_b32 v61, 0, v61 :: v_dual_cndmask_b32 v60, 0, v60
	s_delay_alu instid0(VALU_DEP_1) | instskip(NEXT) | instid1(VALU_DEP_3)
	v_ldexp_f64 v[60:61], v[60:61], 2
	v_add_f64 v[64:65], v[42:43], v[62:63]
	v_add_f64 v[94:95], v[62:63], -v[66:67]
	s_delay_alu instid0(VALU_DEP_2) | instskip(NEXT) | instid1(VALU_DEP_2)
	v_add_f64 v[68:69], v[64:65], v[60:61]
	v_add_f64 v[100:101], v[62:63], -v[94:95]
	v_add_f64 v[58:59], v[58:59], -v[94:95]
	;; [unrolled: 1-line block ×3, first 2 shown]
	s_delay_alu instid0(VALU_DEP_4) | instskip(SKIP_1) | instid1(VALU_DEP_3)
	v_cmp_gt_f64_e32 vcc_lo, 0, v[68:69]
	v_add_f64 v[68:69], v[66:67], -v[78:79]
	v_add_f64 v[42:43], v[62:63], -v[42:43]
	v_cndmask_b32_e64 v83, 0, 0x40100000, vcc_lo
	s_delay_alu instid0(VALU_DEP_3) | instskip(SKIP_2) | instid1(VALU_DEP_4)
	v_add_f64 v[98:99], v[66:67], -v[68:69]
	v_add_f64 v[68:69], v[80:81], -v[68:69]
	;; [unrolled: 1-line block ×3, first 2 shown]
	v_add_f64 v[60:61], v[60:61], v[82:83]
	s_delay_alu instid0(VALU_DEP_4) | instskip(NEXT) | instid1(VALU_DEP_3)
	v_add_f64 v[80:81], v[78:79], -v[98:99]
	v_add_f64 v[58:59], v[58:59], v[66:67]
	s_delay_alu instid0(VALU_DEP_3) | instskip(NEXT) | instid1(VALU_DEP_3)
	v_add_f64 v[96:97], v[64:65], v[60:61]
	v_add_f64 v[68:69], v[68:69], v[80:81]
	s_delay_alu instid0(VALU_DEP_2) | instskip(NEXT) | instid1(VALU_DEP_2)
	v_cvt_i32_f64_e32 v83, v[96:97]
	v_add_f64 v[58:59], v[68:69], v[58:59]
	s_delay_alu instid0(VALU_DEP_2) | instskip(NEXT) | instid1(VALU_DEP_2)
	v_cvt_f64_i32_e32 v[94:95], v83
	v_add_f64 v[40:41], v[40:41], v[58:59]
	s_delay_alu instid0(VALU_DEP_2) | instskip(NEXT) | instid1(VALU_DEP_2)
	v_add_f64 v[60:61], v[60:61], -v[94:95]
	v_add_f64 v[40:41], v[42:43], v[40:41]
	s_delay_alu instid0(VALU_DEP_2) | instskip(NEXT) | instid1(VALU_DEP_1)
	v_add_f64 v[66:67], v[64:65], v[60:61]
	v_add_f64 v[58:59], v[66:67], -v[60:61]
	v_cmp_le_f64_e32 vcc_lo, 0.5, v[66:67]
	s_delay_alu instid0(VALU_DEP_2) | instskip(SKIP_2) | instid1(VALU_DEP_3)
	v_add_f64 v[42:43], v[64:65], -v[58:59]
	v_add_co_ci_u32_e64 v89, s5, 0, v83, vcc_lo
	v_cndmask_b32_e64 v83, 0, 0x3ff00000, vcc_lo
	v_add_f64 v[40:41], v[40:41], v[42:43]
	s_delay_alu instid0(VALU_DEP_2) | instskip(NEXT) | instid1(VALU_DEP_1)
	v_add_f64 v[42:43], v[66:67], -v[82:83]
	v_add_f64 v[58:59], v[42:43], v[40:41]
	s_delay_alu instid0(VALU_DEP_1) | instskip(SKIP_1) | instid1(VALU_DEP_2)
	v_mul_f64 v[60:61], v[58:59], s[12:13]
	v_add_f64 v[42:43], v[58:59], -v[42:43]
	v_fma_f64 v[62:63], v[58:59], s[12:13], -v[60:61]
	s_delay_alu instid0(VALU_DEP_2) | instskip(NEXT) | instid1(VALU_DEP_2)
	v_add_f64 v[40:41], v[40:41], -v[42:43]
	v_fma_f64 v[42:43], v[58:59], s[14:15], v[62:63]
	s_delay_alu instid0(VALU_DEP_1) | instskip(NEXT) | instid1(VALU_DEP_1)
	v_fma_f64 v[42:43], v[40:41], s[12:13], v[42:43]
	v_add_f64 v[40:41], v[60:61], v[42:43]
	s_delay_alu instid0(VALU_DEP_1) | instskip(NEXT) | instid1(VALU_DEP_1)
	v_add_f64 v[58:59], v[40:41], -v[60:61]
	v_add_f64 v[42:43], v[42:43], -v[58:59]
	s_and_not1_saveexec_b32 s5, s6
	s_cbranch_execnz .LBB0_49
.LBB0_46:
	s_or_b32 exec_lo, exec_lo, s5
	s_delay_alu instid0(SALU_CYCLE_1)
	s_and_b32 vcc_lo, exec_lo, s10
	s_cbranch_vccz .LBB0_50
.LBB0_47:
	v_cmp_le_f64_e64 vcc_lo, 0x7b000000, |s[30:31]|
	s_and_b32 s5, s31, 0x7fffffff
	s_mov_b32 s6, 0
	s_mov_b32 s12, 0x54442d18
	;; [unrolled: 1-line block ×5, first 2 shown]
	v_cndmask_b32_e32 v59, s5, v21, vcc_lo
	v_cndmask_b32_e32 v58, s30, v20, vcc_lo
	s_delay_alu instid0(VALU_DEP_1) | instskip(SKIP_2) | instid1(VALU_DEP_3)
	v_mul_f64 v[60:61], v[18:19], v[58:59]
	v_mul_f64 v[62:63], v[8:9], v[58:59]
	;; [unrolled: 1-line block ×3, first 2 shown]
	v_fma_f64 v[64:65], v[18:19], v[58:59], -v[60:61]
	s_delay_alu instid0(VALU_DEP_3) | instskip(NEXT) | instid1(VALU_DEP_3)
	v_fma_f64 v[94:95], v[8:9], v[58:59], -v[62:63]
	v_fma_f64 v[58:59], v[6:7], v[58:59], -v[82:83]
	s_delay_alu instid0(VALU_DEP_3) | instskip(NEXT) | instid1(VALU_DEP_1)
	v_add_f64 v[66:67], v[62:63], v[64:65]
	v_add_f64 v[68:69], v[66:67], -v[62:63]
	v_add_f64 v[80:81], v[60:61], v[66:67]
	s_delay_alu instid0(VALU_DEP_2) | instskip(SKIP_1) | instid1(VALU_DEP_3)
	v_add_f64 v[78:79], v[66:67], -v[68:69]
	v_add_f64 v[64:65], v[64:65], -v[68:69]
	v_ldexp_f64 v[68:69], v[80:81], -2
	v_add_f64 v[60:61], v[80:81], -v[60:61]
	s_delay_alu instid0(VALU_DEP_4) | instskip(SKIP_1) | instid1(VALU_DEP_4)
	v_add_f64 v[62:63], v[62:63], -v[78:79]
	v_add_f64 v[78:79], v[82:83], v[94:95]
	v_cmp_neq_f64_e64 vcc_lo, 0x7ff00000, |v[68:69]|
	s_delay_alu instid0(VALU_DEP_4) | instskip(NEXT) | instid1(VALU_DEP_4)
	v_add_f64 v[60:61], v[66:67], -v[60:61]
	v_add_f64 v[62:63], v[64:65], v[62:63]
	v_fract_f64_e32 v[64:65], v[68:69]
	s_delay_alu instid0(VALU_DEP_2) | instskip(NEXT) | instid1(VALU_DEP_2)
	v_add_f64 v[66:67], v[78:79], v[62:63]
	v_dual_cndmask_b32 v65, 0, v65 :: v_dual_cndmask_b32 v64, 0, v64
	s_delay_alu instid0(VALU_DEP_1) | instskip(NEXT) | instid1(VALU_DEP_3)
	v_ldexp_f64 v[64:65], v[64:65], 2
	v_add_f64 v[68:69], v[60:61], v[66:67]
	v_add_f64 v[96:97], v[66:67], -v[78:79]
	s_delay_alu instid0(VALU_DEP_2) | instskip(NEXT) | instid1(VALU_DEP_2)
	v_add_f64 v[80:81], v[68:69], v[64:65]
	v_add_f64 v[102:103], v[66:67], -v[96:97]
	v_add_f64 v[62:63], v[62:63], -v[96:97]
	;; [unrolled: 1-line block ×3, first 2 shown]
	s_delay_alu instid0(VALU_DEP_4) | instskip(SKIP_1) | instid1(VALU_DEP_3)
	v_cmp_gt_f64_e32 vcc_lo, 0, v[80:81]
	v_add_f64 v[80:81], v[78:79], -v[82:83]
	v_add_f64 v[60:61], v[66:67], -v[60:61]
	s_and_b32 s5, vcc_lo, exec_lo
	s_cselect_b32 s7, 0x40100000, 0
	s_delay_alu instid0(VALU_DEP_2) | instskip(SKIP_3) | instid1(VALU_DEP_4)
	v_add_f64 v[100:101], v[78:79], -v[80:81]
	v_add_f64 v[64:65], v[64:65], s[6:7]
	v_add_f64 v[80:81], v[94:95], -v[80:81]
	v_add_f64 v[78:79], v[78:79], -v[102:103]
	v_add_f64 v[94:95], v[82:83], -v[100:101]
	s_delay_alu instid0(VALU_DEP_4) | instskip(NEXT) | instid1(VALU_DEP_3)
	v_add_f64 v[98:99], v[68:69], v[64:65]
	v_add_f64 v[62:63], v[62:63], v[78:79]
	s_delay_alu instid0(VALU_DEP_3) | instskip(NEXT) | instid1(VALU_DEP_3)
	v_add_f64 v[80:81], v[80:81], v[94:95]
	v_cvt_i32_f64_e32 v98, v[98:99]
	s_delay_alu instid0(VALU_DEP_2) | instskip(NEXT) | instid1(VALU_DEP_2)
	v_add_f64 v[62:63], v[80:81], v[62:63]
	v_cvt_f64_i32_e32 v[96:97], v98
	s_delay_alu instid0(VALU_DEP_2) | instskip(NEXT) | instid1(VALU_DEP_2)
	v_add_f64 v[58:59], v[58:59], v[62:63]
	v_add_f64 v[64:65], v[64:65], -v[96:97]
	s_delay_alu instid0(VALU_DEP_2) | instskip(NEXT) | instid1(VALU_DEP_2)
	v_add_f64 v[58:59], v[60:61], v[58:59]
	v_add_f64 v[78:79], v[68:69], v[64:65]
	s_delay_alu instid0(VALU_DEP_1) | instskip(SKIP_1) | instid1(VALU_DEP_2)
	v_add_f64 v[62:63], v[78:79], -v[64:65]
	v_cmp_le_f64_e32 vcc_lo, 0.5, v[78:79]
	v_add_f64 v[60:61], v[68:69], -v[62:63]
	s_and_b32 s5, vcc_lo, exec_lo
	s_cselect_b32 s7, 0x3ff00000, 0
	v_add_co_ci_u32_e64 v96, s5, 0, v98, vcc_lo
	s_delay_alu instid0(VALU_DEP_2) | instskip(SKIP_1) | instid1(VALU_DEP_1)
	v_add_f64 v[58:59], v[58:59], v[60:61]
	v_add_f64 v[60:61], v[78:79], -s[6:7]
	v_add_f64 v[62:63], v[60:61], v[58:59]
	s_delay_alu instid0(VALU_DEP_1) | instskip(SKIP_1) | instid1(VALU_DEP_2)
	v_mul_f64 v[64:65], v[62:63], s[12:13]
	v_add_f64 v[60:61], v[62:63], -v[60:61]
	v_fma_f64 v[66:67], v[62:63], s[12:13], -v[64:65]
	s_delay_alu instid0(VALU_DEP_2) | instskip(NEXT) | instid1(VALU_DEP_2)
	v_add_f64 v[58:59], v[58:59], -v[60:61]
	v_fma_f64 v[60:61], v[62:63], s[14:15], v[66:67]
	s_delay_alu instid0(VALU_DEP_1) | instskip(NEXT) | instid1(VALU_DEP_1)
	v_fma_f64 v[58:59], v[58:59], s[12:13], v[60:61]
	v_add_f64 v[66:67], v[64:65], v[58:59]
	s_delay_alu instid0(VALU_DEP_1) | instskip(NEXT) | instid1(VALU_DEP_1)
	v_add_f64 v[60:61], v[66:67], -v[64:65]
	v_add_f64 v[68:69], v[58:59], -v[60:61]
	s_cbranch_execz .LBB0_51
	s_branch .LBB0_52
.LBB0_48:
	s_and_not1_saveexec_b32 s5, s6
	s_cbranch_execz .LBB0_46
.LBB0_49:
	s_mov_b32 s6, 0x6dc9c883
	s_mov_b32 s7, 0x3fe45f30
	;; [unrolled: 1-line block ×3, first 2 shown]
	v_mul_f64 v[40:41], |v[4:5]|, s[6:7]
	s_mov_b32 s6, 0x54442d18
	s_mov_b32 s7, 0xbff921fb
	;; [unrolled: 1-line block ×3, first 2 shown]
	s_delay_alu instid0(VALU_DEP_1) | instskip(NEXT) | instid1(VALU_DEP_1)
	v_rndne_f64_e32 v[58:59], v[40:41]
	v_fma_f64 v[40:41], v[58:59], s[6:7], |v[4:5]|
	v_mul_f64 v[42:43], v[58:59], s[12:13]
	s_mov_b32 s6, 0x252049c0
	s_mov_b32 s7, 0xb97b839a
	v_cvt_i32_f64_e32 v89, v[58:59]
	s_delay_alu instid0(VALU_DEP_3) | instskip(NEXT) | instid1(VALU_DEP_3)
	v_fma_f64 v[62:63], v[58:59], s[12:13], v[40:41]
	v_add_f64 v[60:61], v[40:41], v[42:43]
	s_mov_b32 s13, 0x3c91a626
	s_delay_alu instid0(VALU_DEP_1) | instskip(NEXT) | instid1(VALU_DEP_3)
	v_add_f64 v[40:41], v[40:41], -v[60:61]
	v_add_f64 v[60:61], v[60:61], -v[62:63]
	s_delay_alu instid0(VALU_DEP_2) | instskip(SKIP_1) | instid1(VALU_DEP_2)
	v_add_f64 v[40:41], v[40:41], v[42:43]
	v_fma_f64 v[42:43], v[58:59], s[12:13], v[42:43]
	v_add_f64 v[40:41], v[60:61], v[40:41]
	s_delay_alu instid0(VALU_DEP_1) | instskip(NEXT) | instid1(VALU_DEP_1)
	v_add_f64 v[40:41], v[40:41], -v[42:43]
	v_fma_f64 v[42:43], v[58:59], s[6:7], v[40:41]
	s_delay_alu instid0(VALU_DEP_1) | instskip(NEXT) | instid1(VALU_DEP_1)
	v_add_f64 v[40:41], v[62:63], v[42:43]
	v_add_f64 v[60:61], v[40:41], -v[62:63]
	s_delay_alu instid0(VALU_DEP_1) | instskip(SKIP_1) | instid1(SALU_CYCLE_1)
	v_add_f64 v[42:43], v[42:43], -v[60:61]
	s_or_b32 exec_lo, exec_lo, s5
	s_and_b32 vcc_lo, exec_lo, s10
	s_cbranch_vccnz .LBB0_47
.LBB0_50:
                                        ; implicit-def: $vgpr96
                                        ; implicit-def: $vgpr66_vgpr67
                                        ; implicit-def: $vgpr68_vgpr69
.LBB0_51:
	s_mov_b32 s6, 0x6dc9c883
	s_mov_b32 s7, 0x3fe45f30
	;; [unrolled: 1-line block ×3, first 2 shown]
	v_mul_f64 v[58:59], |s[30:31]|, s[6:7]
	s_mov_b32 s6, 0x54442d18
	s_mov_b32 s7, 0xbff921fb
	;; [unrolled: 1-line block ×3, first 2 shown]
	s_delay_alu instid0(VALU_DEP_1) | instskip(NEXT) | instid1(VALU_DEP_1)
	v_rndne_f64_e32 v[58:59], v[58:59]
	v_fma_f64 v[60:61], v[58:59], s[6:7], |s[30:31]|
	v_mul_f64 v[62:63], v[58:59], s[12:13]
	s_mov_b32 s6, 0x252049c0
	s_mov_b32 s7, 0xb97b839a
	v_cvt_i32_f64_e32 v96, v[58:59]
	s_delay_alu instid0(VALU_DEP_3) | instskip(NEXT) | instid1(VALU_DEP_3)
	v_fma_f64 v[68:69], v[58:59], s[12:13], v[60:61]
	v_add_f64 v[64:65], v[60:61], v[62:63]
	s_mov_b32 s13, 0x3c91a626
	s_delay_alu instid0(VALU_DEP_1) | instskip(NEXT) | instid1(VALU_DEP_3)
	v_add_f64 v[60:61], v[60:61], -v[64:65]
	v_add_f64 v[64:65], v[64:65], -v[68:69]
	s_delay_alu instid0(VALU_DEP_2) | instskip(SKIP_1) | instid1(VALU_DEP_2)
	v_add_f64 v[60:61], v[60:61], v[62:63]
	v_fma_f64 v[62:63], v[58:59], s[12:13], v[62:63]
	v_add_f64 v[60:61], v[64:65], v[60:61]
	s_delay_alu instid0(VALU_DEP_1) | instskip(NEXT) | instid1(VALU_DEP_1)
	v_add_f64 v[60:61], v[60:61], -v[62:63]
	v_fma_f64 v[60:61], v[58:59], s[6:7], v[60:61]
	s_delay_alu instid0(VALU_DEP_1) | instskip(NEXT) | instid1(VALU_DEP_1)
	v_add_f64 v[66:67], v[68:69], v[60:61]
	v_add_f64 v[62:63], v[66:67], -v[68:69]
	s_delay_alu instid0(VALU_DEP_1)
	v_add_f64 v[68:69], v[60:61], -v[62:63]
.LBB0_52:
                                        ; implicit-def: $vgpr95
                                        ; implicit-def: $vgpr62_vgpr63
                                        ; implicit-def: $vgpr64_vgpr65
	s_and_saveexec_b32 s5, s11
	s_delay_alu instid0(SALU_CYCLE_1)
	s_xor_b32 s6, exec_lo, s5
	s_cbranch_execz .LBB0_54
; %bb.53:
	v_cmp_le_f64_e64 vcc_lo, 0x7b000000, |v[4:5]|
	v_mov_b32_e32 v101, 0
	s_mov_b32 s12, 0x54442d18
	s_mov_b32 s13, 0x3ff921fb
	;; [unrolled: 1-line block ×4, first 2 shown]
	v_dual_cndmask_b32 v59, v91, v55 :: v_dual_cndmask_b32 v58, v4, v54
	s_delay_alu instid0(VALU_DEP_1) | instskip(SKIP_2) | instid1(VALU_DEP_3)
	v_mul_f64 v[60:61], v[52:53], v[58:59]
	v_mul_f64 v[62:63], v[50:51], v[58:59]
	;; [unrolled: 1-line block ×3, first 2 shown]
	v_fma_f64 v[64:65], v[52:53], v[58:59], -v[60:61]
	s_delay_alu instid0(VALU_DEP_3) | instskip(NEXT) | instid1(VALU_DEP_3)
	v_fma_f64 v[99:100], v[50:51], v[58:59], -v[62:63]
	v_fma_f64 v[58:59], v[44:45], v[58:59], -v[97:98]
	s_delay_alu instid0(VALU_DEP_3) | instskip(NEXT) | instid1(VALU_DEP_1)
	v_add_f64 v[78:79], v[62:63], v[64:65]
	v_add_f64 v[80:81], v[78:79], -v[62:63]
	v_add_f64 v[94:95], v[60:61], v[78:79]
	s_delay_alu instid0(VALU_DEP_2) | instskip(SKIP_1) | instid1(VALU_DEP_3)
	v_add_f64 v[82:83], v[78:79], -v[80:81]
	v_add_f64 v[64:65], v[64:65], -v[80:81]
	v_ldexp_f64 v[80:81], v[94:95], -2
	v_add_f64 v[60:61], v[94:95], -v[60:61]
	s_delay_alu instid0(VALU_DEP_4) | instskip(SKIP_1) | instid1(VALU_DEP_4)
	v_add_f64 v[62:63], v[62:63], -v[82:83]
	v_add_f64 v[82:83], v[97:98], v[99:100]
	v_cmp_neq_f64_e64 vcc_lo, 0x7ff00000, |v[80:81]|
	s_delay_alu instid0(VALU_DEP_4) | instskip(NEXT) | instid1(VALU_DEP_4)
	v_add_f64 v[60:61], v[78:79], -v[60:61]
	v_add_f64 v[62:63], v[64:65], v[62:63]
	v_fract_f64_e32 v[64:65], v[80:81]
	s_delay_alu instid0(VALU_DEP_2) | instskip(NEXT) | instid1(VALU_DEP_2)
	v_add_f64 v[78:79], v[82:83], v[62:63]
	v_dual_cndmask_b32 v65, 0, v65 :: v_dual_cndmask_b32 v64, 0, v64
	s_delay_alu instid0(VALU_DEP_1) | instskip(NEXT) | instid1(VALU_DEP_3)
	v_ldexp_f64 v[64:65], v[64:65], 2
	v_add_f64 v[80:81], v[60:61], v[78:79]
	s_delay_alu instid0(VALU_DEP_1) | instskip(SKIP_1) | instid1(VALU_DEP_2)
	v_add_f64 v[94:95], v[80:81], v[64:65]
	v_add_f64 v[60:61], v[80:81], -v[60:61]
	v_cmp_gt_f64_e32 vcc_lo, 0, v[94:95]
	v_add_f64 v[94:95], v[82:83], -v[97:98]
	s_delay_alu instid0(VALU_DEP_3) | instskip(SKIP_1) | instid1(VALU_DEP_3)
	v_add_f64 v[60:61], v[78:79], -v[60:61]
	v_cndmask_b32_e64 v102, 0, 0x40100000, vcc_lo
	v_add_f64 v[106:107], v[82:83], -v[94:95]
	v_add_f64 v[94:95], v[99:100], -v[94:95]
	s_delay_alu instid0(VALU_DEP_3) | instskip(SKIP_1) | instid1(VALU_DEP_4)
	v_add_f64 v[64:65], v[64:65], v[101:102]
	v_add_f64 v[102:103], v[78:79], -v[82:83]
	v_add_f64 v[99:100], v[97:98], -v[106:107]
	s_delay_alu instid0(VALU_DEP_3) | instskip(NEXT) | instid1(VALU_DEP_3)
	v_add_f64 v[104:105], v[80:81], v[64:65]
	v_add_f64 v[108:109], v[78:79], -v[102:103]
	v_add_f64 v[62:63], v[62:63], -v[102:103]
	s_delay_alu instid0(VALU_DEP_4) | instskip(NEXT) | instid1(VALU_DEP_4)
	v_add_f64 v[94:95], v[94:95], v[99:100]
	v_cvt_i32_f64_e32 v104, v[104:105]
	s_delay_alu instid0(VALU_DEP_4) | instskip(NEXT) | instid1(VALU_DEP_2)
	v_add_f64 v[82:83], v[82:83], -v[108:109]
	v_cvt_f64_i32_e32 v[102:103], v104
	s_delay_alu instid0(VALU_DEP_2) | instskip(NEXT) | instid1(VALU_DEP_2)
	v_add_f64 v[62:63], v[62:63], v[82:83]
	v_add_f64 v[64:65], v[64:65], -v[102:103]
	s_delay_alu instid0(VALU_DEP_2) | instskip(NEXT) | instid1(VALU_DEP_2)
	v_add_f64 v[62:63], v[94:95], v[62:63]
	v_add_f64 v[82:83], v[80:81], v[64:65]
	s_delay_alu instid0(VALU_DEP_2) | instskip(NEXT) | instid1(VALU_DEP_2)
	v_add_f64 v[58:59], v[58:59], v[62:63]
	v_add_f64 v[62:63], v[82:83], -v[64:65]
	v_cmp_le_f64_e32 vcc_lo, 0.5, v[82:83]
	s_delay_alu instid0(VALU_DEP_3) | instskip(NEXT) | instid1(VALU_DEP_3)
	v_add_f64 v[58:59], v[60:61], v[58:59]
	v_add_f64 v[60:61], v[80:81], -v[62:63]
	v_cndmask_b32_e64 v102, 0, 0x3ff00000, vcc_lo
	v_add_co_ci_u32_e64 v95, s5, 0, v104, vcc_lo
	s_delay_alu instid0(VALU_DEP_3) | instskip(NEXT) | instid1(VALU_DEP_3)
	v_add_f64 v[58:59], v[58:59], v[60:61]
	v_add_f64 v[60:61], v[82:83], -v[101:102]
	s_delay_alu instid0(VALU_DEP_1) | instskip(NEXT) | instid1(VALU_DEP_1)
	v_add_f64 v[62:63], v[60:61], v[58:59]
	v_mul_f64 v[64:65], v[62:63], s[12:13]
	v_add_f64 v[60:61], v[62:63], -v[60:61]
	s_delay_alu instid0(VALU_DEP_2) | instskip(NEXT) | instid1(VALU_DEP_2)
	v_fma_f64 v[78:79], v[62:63], s[12:13], -v[64:65]
	v_add_f64 v[58:59], v[58:59], -v[60:61]
	s_delay_alu instid0(VALU_DEP_2) | instskip(NEXT) | instid1(VALU_DEP_1)
	v_fma_f64 v[60:61], v[62:63], s[14:15], v[78:79]
	v_fma_f64 v[58:59], v[58:59], s[12:13], v[60:61]
	s_delay_alu instid0(VALU_DEP_1) | instskip(NEXT) | instid1(VALU_DEP_1)
	v_add_f64 v[62:63], v[64:65], v[58:59]
	v_add_f64 v[60:61], v[62:63], -v[64:65]
	s_delay_alu instid0(VALU_DEP_1)
	v_add_f64 v[64:65], v[58:59], -v[60:61]
	s_and_not1_saveexec_b32 s5, s6
	s_cbranch_execz .LBB0_56
	s_branch .LBB0_55
.LBB0_54:
	s_and_not1_saveexec_b32 s5, s6
	s_cbranch_execz .LBB0_56
.LBB0_55:
	s_mov_b32 s6, 0x6dc9c883
	s_mov_b32 s7, 0x3fe45f30
	;; [unrolled: 1-line block ×3, first 2 shown]
	v_mul_f64 v[58:59], |v[4:5]|, s[6:7]
	s_mov_b32 s6, 0x54442d18
	s_mov_b32 s7, 0xbff921fb
	;; [unrolled: 1-line block ×3, first 2 shown]
	s_delay_alu instid0(VALU_DEP_1) | instskip(NEXT) | instid1(VALU_DEP_1)
	v_rndne_f64_e32 v[58:59], v[58:59]
	v_fma_f64 v[60:61], v[58:59], s[6:7], |v[4:5]|
	v_mul_f64 v[62:63], v[58:59], s[12:13]
	s_mov_b32 s6, 0x252049c0
	s_mov_b32 s7, 0xb97b839a
	v_cvt_i32_f64_e32 v95, v[58:59]
	s_delay_alu instid0(VALU_DEP_3) | instskip(NEXT) | instid1(VALU_DEP_3)
	v_fma_f64 v[78:79], v[58:59], s[12:13], v[60:61]
	v_add_f64 v[64:65], v[60:61], v[62:63]
	s_mov_b32 s13, 0x3c91a626
	s_delay_alu instid0(VALU_DEP_1) | instskip(NEXT) | instid1(VALU_DEP_3)
	v_add_f64 v[60:61], v[60:61], -v[64:65]
	v_add_f64 v[64:65], v[64:65], -v[78:79]
	s_delay_alu instid0(VALU_DEP_2) | instskip(SKIP_1) | instid1(VALU_DEP_2)
	v_add_f64 v[60:61], v[60:61], v[62:63]
	v_fma_f64 v[62:63], v[58:59], s[12:13], v[62:63]
	v_add_f64 v[60:61], v[64:65], v[60:61]
	s_delay_alu instid0(VALU_DEP_1) | instskip(NEXT) | instid1(VALU_DEP_1)
	v_add_f64 v[60:61], v[60:61], -v[62:63]
	v_fma_f64 v[60:61], v[58:59], s[6:7], v[60:61]
	s_delay_alu instid0(VALU_DEP_1) | instskip(NEXT) | instid1(VALU_DEP_1)
	v_add_f64 v[62:63], v[78:79], v[60:61]
	v_add_f64 v[64:65], v[62:63], -v[78:79]
	s_delay_alu instid0(VALU_DEP_1)
	v_add_f64 v[64:65], v[60:61], -v[64:65]
.LBB0_56:
	s_or_b32 exec_lo, exec_lo, s5
                                        ; implicit-def: $vgpr94
                                        ; implicit-def: $vgpr58_vgpr59
                                        ; implicit-def: $vgpr60_vgpr61
	s_and_saveexec_b32 s5, s11
	s_delay_alu instid0(SALU_CYCLE_1)
	s_xor_b32 s6, exec_lo, s5
	s_cbranch_execz .LBB0_60
; %bb.57:
	v_cmp_le_f64_e64 vcc_lo, 0x7b000000, |v[4:5]|
	v_mov_b32_e32 v107, 0
	s_mov_b32 s12, 0x54442d18
	s_mov_b32 s13, 0x3ff921fb
	;; [unrolled: 1-line block ×4, first 2 shown]
	v_dual_cndmask_b32 v59, v91, v55 :: v_dual_cndmask_b32 v58, v4, v54
	s_delay_alu instid0(VALU_DEP_1) | instskip(SKIP_2) | instid1(VALU_DEP_3)
	v_mul_f64 v[60:61], v[52:53], v[58:59]
	v_mul_f64 v[78:79], v[50:51], v[58:59]
	;; [unrolled: 1-line block ×3, first 2 shown]
	v_fma_f64 v[80:81], v[52:53], v[58:59], -v[60:61]
	s_delay_alu instid0(VALU_DEP_3) | instskip(NEXT) | instid1(VALU_DEP_3)
	v_fma_f64 v[105:106], v[50:51], v[58:59], -v[78:79]
	v_fma_f64 v[58:59], v[44:45], v[58:59], -v[103:104]
	s_delay_alu instid0(VALU_DEP_3) | instskip(NEXT) | instid1(VALU_DEP_1)
	v_add_f64 v[82:83], v[78:79], v[80:81]
	v_add_f64 v[97:98], v[82:83], -v[78:79]
	v_add_f64 v[101:102], v[60:61], v[82:83]
	s_delay_alu instid0(VALU_DEP_2) | instskip(SKIP_1) | instid1(VALU_DEP_3)
	v_add_f64 v[99:100], v[82:83], -v[97:98]
	v_add_f64 v[80:81], v[80:81], -v[97:98]
	v_ldexp_f64 v[97:98], v[101:102], -2
	v_add_f64 v[60:61], v[101:102], -v[60:61]
	s_delay_alu instid0(VALU_DEP_4) | instskip(SKIP_1) | instid1(VALU_DEP_4)
	v_add_f64 v[78:79], v[78:79], -v[99:100]
	v_add_f64 v[99:100], v[103:104], v[105:106]
	v_cmp_neq_f64_e64 vcc_lo, 0x7ff00000, |v[97:98]|
	s_delay_alu instid0(VALU_DEP_4) | instskip(NEXT) | instid1(VALU_DEP_4)
	v_add_f64 v[60:61], v[82:83], -v[60:61]
	v_add_f64 v[78:79], v[80:81], v[78:79]
	v_fract_f64_e32 v[80:81], v[97:98]
	s_delay_alu instid0(VALU_DEP_2) | instskip(NEXT) | instid1(VALU_DEP_2)
	v_add_f64 v[82:83], v[99:100], v[78:79]
	v_dual_cndmask_b32 v81, 0, v81 :: v_dual_cndmask_b32 v80, 0, v80
	s_delay_alu instid0(VALU_DEP_1) | instskip(NEXT) | instid1(VALU_DEP_3)
	v_ldexp_f64 v[80:81], v[80:81], 2
	v_add_f64 v[97:98], v[60:61], v[82:83]
	s_delay_alu instid0(VALU_DEP_1) | instskip(SKIP_1) | instid1(VALU_DEP_2)
	v_add_f64 v[101:102], v[97:98], v[80:81]
	v_add_f64 v[60:61], v[97:98], -v[60:61]
	v_cmp_gt_f64_e32 vcc_lo, 0, v[101:102]
	v_add_f64 v[101:102], v[99:100], -v[103:104]
	s_delay_alu instid0(VALU_DEP_3) | instskip(SKIP_1) | instid1(VALU_DEP_3)
	v_add_f64 v[60:61], v[82:83], -v[60:61]
	v_cndmask_b32_e64 v108, 0, 0x40100000, vcc_lo
	v_add_f64 v[112:113], v[99:100], -v[101:102]
	v_add_f64 v[101:102], v[105:106], -v[101:102]
	s_delay_alu instid0(VALU_DEP_3) | instskip(SKIP_1) | instid1(VALU_DEP_4)
	v_add_f64 v[80:81], v[80:81], v[107:108]
	v_add_f64 v[108:109], v[82:83], -v[99:100]
	v_add_f64 v[105:106], v[103:104], -v[112:113]
	s_delay_alu instid0(VALU_DEP_3) | instskip(NEXT) | instid1(VALU_DEP_3)
	v_add_f64 v[110:111], v[97:98], v[80:81]
	v_add_f64 v[114:115], v[82:83], -v[108:109]
	v_add_f64 v[78:79], v[78:79], -v[108:109]
	s_delay_alu instid0(VALU_DEP_4) | instskip(NEXT) | instid1(VALU_DEP_4)
	v_add_f64 v[101:102], v[101:102], v[105:106]
	v_cvt_i32_f64_e32 v94, v[110:111]
	s_delay_alu instid0(VALU_DEP_4) | instskip(NEXT) | instid1(VALU_DEP_2)
	v_add_f64 v[99:100], v[99:100], -v[114:115]
	v_cvt_f64_i32_e32 v[108:109], v94
	s_delay_alu instid0(VALU_DEP_2) | instskip(NEXT) | instid1(VALU_DEP_2)
	v_add_f64 v[78:79], v[78:79], v[99:100]
	v_add_f64 v[80:81], v[80:81], -v[108:109]
	s_delay_alu instid0(VALU_DEP_2) | instskip(NEXT) | instid1(VALU_DEP_2)
	v_add_f64 v[78:79], v[101:102], v[78:79]
	v_add_f64 v[99:100], v[97:98], v[80:81]
	s_delay_alu instid0(VALU_DEP_2) | instskip(NEXT) | instid1(VALU_DEP_2)
	v_add_f64 v[58:59], v[58:59], v[78:79]
	v_add_f64 v[78:79], v[99:100], -v[80:81]
	v_cmp_le_f64_e32 vcc_lo, 0.5, v[99:100]
	s_delay_alu instid0(VALU_DEP_3) | instskip(NEXT) | instid1(VALU_DEP_3)
	v_add_f64 v[58:59], v[60:61], v[58:59]
	v_add_f64 v[60:61], v[97:98], -v[78:79]
	v_cndmask_b32_e64 v108, 0, 0x3ff00000, vcc_lo
	v_add_co_ci_u32_e64 v94, s5, 0, v94, vcc_lo
	s_delay_alu instid0(VALU_DEP_3) | instskip(NEXT) | instid1(VALU_DEP_3)
	v_add_f64 v[58:59], v[58:59], v[60:61]
	v_add_f64 v[60:61], v[99:100], -v[107:108]
	s_delay_alu instid0(VALU_DEP_1) | instskip(NEXT) | instid1(VALU_DEP_1)
	v_add_f64 v[78:79], v[60:61], v[58:59]
	v_mul_f64 v[80:81], v[78:79], s[12:13]
	v_add_f64 v[60:61], v[78:79], -v[60:61]
	s_delay_alu instid0(VALU_DEP_2) | instskip(NEXT) | instid1(VALU_DEP_2)
	v_fma_f64 v[82:83], v[78:79], s[12:13], -v[80:81]
	v_add_f64 v[58:59], v[58:59], -v[60:61]
	s_delay_alu instid0(VALU_DEP_2) | instskip(NEXT) | instid1(VALU_DEP_1)
	v_fma_f64 v[60:61], v[78:79], s[14:15], v[82:83]
	v_fma_f64 v[60:61], v[58:59], s[12:13], v[60:61]
	s_delay_alu instid0(VALU_DEP_1) | instskip(NEXT) | instid1(VALU_DEP_1)
	v_add_f64 v[58:59], v[80:81], v[60:61]
	v_add_f64 v[78:79], v[58:59], -v[80:81]
	s_delay_alu instid0(VALU_DEP_1)
	v_add_f64 v[60:61], v[60:61], -v[78:79]
	s_and_not1_saveexec_b32 s5, s6
	s_cbranch_execnz .LBB0_61
.LBB0_58:
	s_or_b32 exec_lo, exec_lo, s5
	s_delay_alu instid0(SALU_CYCLE_1)
	s_and_b32 vcc_lo, exec_lo, s10
	s_cbranch_vccz .LBB0_62
.LBB0_59:
	v_cmp_le_f64_e64 vcc_lo, 0x7b000000, |s[30:31]|
	s_and_b32 s5, s31, 0x7fffffff
	s_mov_b32 s6, 0
	s_mov_b32 s12, 0x54442d18
	;; [unrolled: 1-line block ×5, first 2 shown]
	v_cndmask_b32_e32 v21, s5, v21, vcc_lo
	v_cndmask_b32_e32 v20, s30, v20, vcc_lo
	s_delay_alu instid0(VALU_DEP_1) | instskip(SKIP_2) | instid1(VALU_DEP_3)
	v_mul_f64 v[78:79], v[18:19], v[20:21]
	v_mul_f64 v[80:81], v[8:9], v[20:21]
	;; [unrolled: 1-line block ×3, first 2 shown]
	v_fma_f64 v[18:19], v[18:19], v[20:21], -v[78:79]
	s_delay_alu instid0(VALU_DEP_3) | instskip(NEXT) | instid1(VALU_DEP_3)
	v_fma_f64 v[8:9], v[8:9], v[20:21], -v[80:81]
	v_fma_f64 v[6:7], v[6:7], v[20:21], -v[103:104]
	s_delay_alu instid0(VALU_DEP_3) | instskip(NEXT) | instid1(VALU_DEP_1)
	v_add_f64 v[82:83], v[80:81], v[18:19]
	v_add_f64 v[97:98], v[82:83], -v[80:81]
	v_add_f64 v[101:102], v[78:79], v[82:83]
	s_delay_alu instid0(VALU_DEP_2) | instskip(SKIP_1) | instid1(VALU_DEP_3)
	v_add_f64 v[99:100], v[82:83], -v[97:98]
	v_add_f64 v[18:19], v[18:19], -v[97:98]
	v_ldexp_f64 v[97:98], v[101:102], -2
	v_add_f64 v[78:79], v[101:102], -v[78:79]
	s_delay_alu instid0(VALU_DEP_4) | instskip(SKIP_1) | instid1(VALU_DEP_4)
	v_add_f64 v[80:81], v[80:81], -v[99:100]
	v_add_f64 v[99:100], v[103:104], v[8:9]
	v_cmp_neq_f64_e64 vcc_lo, 0x7ff00000, |v[97:98]|
	s_delay_alu instid0(VALU_DEP_4) | instskip(NEXT) | instid1(VALU_DEP_4)
	v_add_f64 v[78:79], v[82:83], -v[78:79]
	v_add_f64 v[18:19], v[18:19], v[80:81]
	v_fract_f64_e32 v[80:81], v[97:98]
	s_delay_alu instid0(VALU_DEP_2) | instskip(NEXT) | instid1(VALU_DEP_2)
	v_add_f64 v[82:83], v[99:100], v[18:19]
	v_dual_cndmask_b32 v81, 0, v81 :: v_dual_cndmask_b32 v80, 0, v80
	s_delay_alu instid0(VALU_DEP_1) | instskip(NEXT) | instid1(VALU_DEP_3)
	v_ldexp_f64 v[80:81], v[80:81], 2
	v_add_f64 v[97:98], v[78:79], v[82:83]
	v_add_f64 v[105:106], v[82:83], -v[99:100]
	s_delay_alu instid0(VALU_DEP_2) | instskip(NEXT) | instid1(VALU_DEP_2)
	v_add_f64 v[101:102], v[97:98], v[80:81]
	v_add_f64 v[111:112], v[82:83], -v[105:106]
	v_add_f64 v[18:19], v[18:19], -v[105:106]
	;; [unrolled: 1-line block ×3, first 2 shown]
	s_delay_alu instid0(VALU_DEP_4) | instskip(SKIP_1) | instid1(VALU_DEP_3)
	v_cmp_gt_f64_e32 vcc_lo, 0, v[101:102]
	v_add_f64 v[101:102], v[99:100], -v[103:104]
	v_add_f64 v[20:21], v[82:83], -v[20:21]
	s_and_b32 s5, vcc_lo, exec_lo
	s_cselect_b32 s7, 0x40100000, 0
	s_delay_alu instid0(VALU_DEP_2) | instskip(SKIP_3) | instid1(VALU_DEP_4)
	v_add_f64 v[109:110], v[99:100], -v[101:102]
	v_add_f64 v[80:81], v[80:81], s[6:7]
	v_add_f64 v[8:9], v[8:9], -v[101:102]
	v_add_f64 v[99:100], v[99:100], -v[111:112]
	;; [unrolled: 1-line block ×3, first 2 shown]
	s_delay_alu instid0(VALU_DEP_4) | instskip(NEXT) | instid1(VALU_DEP_3)
	v_add_f64 v[107:108], v[97:98], v[80:81]
	v_add_f64 v[18:19], v[18:19], v[99:100]
	s_delay_alu instid0(VALU_DEP_3) | instskip(NEXT) | instid1(VALU_DEP_3)
	v_add_f64 v[8:9], v[8:9], v[101:102]
	v_cvt_i32_f64_e32 v107, v[107:108]
	s_delay_alu instid0(VALU_DEP_2) | instskip(NEXT) | instid1(VALU_DEP_2)
	v_add_f64 v[8:9], v[8:9], v[18:19]
	v_cvt_f64_i32_e32 v[105:106], v107
	s_delay_alu instid0(VALU_DEP_2) | instskip(NEXT) | instid1(VALU_DEP_2)
	v_add_f64 v[6:7], v[6:7], v[8:9]
	v_add_f64 v[80:81], v[80:81], -v[105:106]
	s_delay_alu instid0(VALU_DEP_2) | instskip(NEXT) | instid1(VALU_DEP_2)
	v_add_f64 v[6:7], v[20:21], v[6:7]
	v_add_f64 v[18:19], v[97:98], v[80:81]
	s_delay_alu instid0(VALU_DEP_1) | instskip(SKIP_1) | instid1(VALU_DEP_2)
	v_add_f64 v[8:9], v[18:19], -v[80:81]
	v_cmp_le_f64_e32 vcc_lo, 0.5, v[18:19]
	v_add_f64 v[8:9], v[97:98], -v[8:9]
	s_and_b32 s5, vcc_lo, exec_lo
	s_cselect_b32 s7, 0x3ff00000, 0
	v_add_co_ci_u32_e64 v98, s5, 0, v107, vcc_lo
	s_delay_alu instid0(VALU_DEP_2) | instskip(SKIP_1) | instid1(VALU_DEP_1)
	v_add_f64 v[6:7], v[6:7], v[8:9]
	v_add_f64 v[8:9], v[18:19], -s[6:7]
	v_add_f64 v[18:19], v[8:9], v[6:7]
	s_delay_alu instid0(VALU_DEP_1) | instskip(SKIP_1) | instid1(VALU_DEP_2)
	v_mul_f64 v[20:21], v[18:19], s[12:13]
	v_add_f64 v[8:9], v[18:19], -v[8:9]
	v_fma_f64 v[78:79], v[18:19], s[12:13], -v[20:21]
	s_delay_alu instid0(VALU_DEP_2) | instskip(NEXT) | instid1(VALU_DEP_2)
	v_add_f64 v[6:7], v[6:7], -v[8:9]
	v_fma_f64 v[8:9], v[18:19], s[14:15], v[78:79]
	s_delay_alu instid0(VALU_DEP_1) | instskip(NEXT) | instid1(VALU_DEP_1)
	v_fma_f64 v[6:7], v[6:7], s[12:13], v[8:9]
	v_add_f64 v[8:9], v[20:21], v[6:7]
	s_delay_alu instid0(VALU_DEP_1) | instskip(NEXT) | instid1(VALU_DEP_1)
	v_add_f64 v[18:19], v[8:9], -v[20:21]
	v_add_f64 v[82:83], v[6:7], -v[18:19]
	s_cbranch_execz .LBB0_63
	s_branch .LBB0_64
.LBB0_60:
	s_and_not1_saveexec_b32 s5, s6
	s_cbranch_execz .LBB0_58
.LBB0_61:
	s_mov_b32 s6, 0x6dc9c883
	s_mov_b32 s7, 0x3fe45f30
	;; [unrolled: 1-line block ×3, first 2 shown]
	v_mul_f64 v[58:59], |v[4:5]|, s[6:7]
	s_mov_b32 s6, 0x54442d18
	s_mov_b32 s7, 0xbff921fb
	;; [unrolled: 1-line block ×3, first 2 shown]
	s_delay_alu instid0(VALU_DEP_1) | instskip(NEXT) | instid1(VALU_DEP_1)
	v_rndne_f64_e32 v[78:79], v[58:59]
	v_fma_f64 v[58:59], v[78:79], s[6:7], |v[4:5]|
	v_mul_f64 v[60:61], v[78:79], s[12:13]
	s_mov_b32 s6, 0x252049c0
	s_mov_b32 s7, 0xb97b839a
	v_cvt_i32_f64_e32 v94, v[78:79]
	s_delay_alu instid0(VALU_DEP_3) | instskip(NEXT) | instid1(VALU_DEP_3)
	v_fma_f64 v[82:83], v[78:79], s[12:13], v[58:59]
	v_add_f64 v[80:81], v[58:59], v[60:61]
	s_mov_b32 s13, 0x3c91a626
	s_delay_alu instid0(VALU_DEP_1) | instskip(NEXT) | instid1(VALU_DEP_3)
	v_add_f64 v[58:59], v[58:59], -v[80:81]
	v_add_f64 v[80:81], v[80:81], -v[82:83]
	s_delay_alu instid0(VALU_DEP_2) | instskip(SKIP_1) | instid1(VALU_DEP_2)
	v_add_f64 v[58:59], v[58:59], v[60:61]
	v_fma_f64 v[60:61], v[78:79], s[12:13], v[60:61]
	v_add_f64 v[58:59], v[80:81], v[58:59]
	s_delay_alu instid0(VALU_DEP_1) | instskip(NEXT) | instid1(VALU_DEP_1)
	v_add_f64 v[58:59], v[58:59], -v[60:61]
	v_fma_f64 v[60:61], v[78:79], s[6:7], v[58:59]
	s_delay_alu instid0(VALU_DEP_1) | instskip(NEXT) | instid1(VALU_DEP_1)
	v_add_f64 v[58:59], v[82:83], v[60:61]
	v_add_f64 v[80:81], v[58:59], -v[82:83]
	s_delay_alu instid0(VALU_DEP_1) | instskip(SKIP_1) | instid1(SALU_CYCLE_1)
	v_add_f64 v[60:61], v[60:61], -v[80:81]
	s_or_b32 exec_lo, exec_lo, s5
	s_and_b32 vcc_lo, exec_lo, s10
	s_cbranch_vccnz .LBB0_59
.LBB0_62:
                                        ; implicit-def: $vgpr98
                                        ; implicit-def: $vgpr8_vgpr9
                                        ; implicit-def: $vgpr82_vgpr83
.LBB0_63:
	s_mov_b32 s6, 0x6dc9c883
	s_mov_b32 s7, 0x3fe45f30
	;; [unrolled: 1-line block ×3, first 2 shown]
	v_mul_f64 v[6:7], |s[30:31]|, s[6:7]
	s_mov_b32 s6, 0x54442d18
	s_mov_b32 s7, 0xbff921fb
	;; [unrolled: 1-line block ×3, first 2 shown]
	s_delay_alu instid0(VALU_DEP_1) | instskip(NEXT) | instid1(VALU_DEP_1)
	v_rndne_f64_e32 v[6:7], v[6:7]
	v_fma_f64 v[8:9], v[6:7], s[6:7], |s[30:31]|
	v_mul_f64 v[18:19], v[6:7], s[12:13]
	s_mov_b32 s6, 0x252049c0
	s_mov_b32 s7, 0xb97b839a
	v_cvt_i32_f64_e32 v98, v[6:7]
	s_delay_alu instid0(VALU_DEP_3) | instskip(NEXT) | instid1(VALU_DEP_3)
	v_fma_f64 v[78:79], v[6:7], s[12:13], v[8:9]
	v_add_f64 v[20:21], v[8:9], v[18:19]
	s_mov_b32 s13, 0x3c91a626
	s_delay_alu instid0(VALU_DEP_1) | instskip(NEXT) | instid1(VALU_DEP_3)
	v_add_f64 v[8:9], v[8:9], -v[20:21]
	v_add_f64 v[20:21], v[20:21], -v[78:79]
	s_delay_alu instid0(VALU_DEP_2) | instskip(SKIP_1) | instid1(VALU_DEP_2)
	v_add_f64 v[8:9], v[8:9], v[18:19]
	v_fma_f64 v[18:19], v[6:7], s[12:13], v[18:19]
	v_add_f64 v[8:9], v[20:21], v[8:9]
	s_delay_alu instid0(VALU_DEP_1) | instskip(NEXT) | instid1(VALU_DEP_1)
	v_add_f64 v[8:9], v[8:9], -v[18:19]
	v_fma_f64 v[18:19], v[6:7], s[6:7], v[8:9]
	s_delay_alu instid0(VALU_DEP_1) | instskip(NEXT) | instid1(VALU_DEP_1)
	v_add_f64 v[8:9], v[78:79], v[18:19]
	v_add_f64 v[20:21], v[8:9], -v[78:79]
	s_delay_alu instid0(VALU_DEP_1)
	v_add_f64 v[82:83], v[18:19], -v[20:21]
.LBB0_64:
                                        ; implicit-def: $vgpr97
                                        ; implicit-def: $vgpr78_vgpr79
                                        ; implicit-def: $vgpr80_vgpr81
	s_and_saveexec_b32 s5, s4
	s_delay_alu instid0(SALU_CYCLE_1)
	s_xor_b32 s5, exec_lo, s5
	s_cbranch_execz .LBB0_66
; %bb.65:
	v_cmp_le_f64_e32 vcc_lo, 0x7b000000, v[56:57]
	v_mov_b32_e32 v103, 0
	s_mov_b32 s6, 0x54442d18
	s_mov_b32 s7, 0x3ff921fb
	;; [unrolled: 1-line block ×4, first 2 shown]
	v_dual_cndmask_b32 v7, v57, v77 :: v_dual_cndmask_b32 v6, v56, v76
	s_delay_alu instid0(VALU_DEP_1) | instskip(SKIP_2) | instid1(VALU_DEP_3)
	v_mul_f64 v[18:19], v[74:75], v[6:7]
	v_mul_f64 v[20:21], v[72:73], v[6:7]
	;; [unrolled: 1-line block ×3, first 2 shown]
	v_fma_f64 v[74:75], v[74:75], v[6:7], -v[18:19]
	s_delay_alu instid0(VALU_DEP_3) | instskip(NEXT) | instid1(VALU_DEP_3)
	v_fma_f64 v[72:73], v[72:73], v[6:7], -v[20:21]
	v_fma_f64 v[6:7], v[70:71], v[6:7], -v[101:102]
	s_delay_alu instid0(VALU_DEP_3) | instskip(NEXT) | instid1(VALU_DEP_1)
	v_add_f64 v[76:77], v[20:21], v[74:75]
	v_add_f64 v[78:79], v[76:77], -v[20:21]
	v_add_f64 v[99:100], v[18:19], v[76:77]
	s_delay_alu instid0(VALU_DEP_2) | instskip(SKIP_1) | instid1(VALU_DEP_3)
	v_add_f64 v[80:81], v[76:77], -v[78:79]
	v_add_f64 v[74:75], v[74:75], -v[78:79]
	v_ldexp_f64 v[78:79], v[99:100], -2
	v_add_f64 v[18:19], v[99:100], -v[18:19]
	s_delay_alu instid0(VALU_DEP_4) | instskip(SKIP_1) | instid1(VALU_DEP_4)
	v_add_f64 v[20:21], v[20:21], -v[80:81]
	v_add_f64 v[80:81], v[101:102], v[72:73]
	v_cmp_neq_f64_e64 vcc_lo, 0x7ff00000, |v[78:79]|
	s_delay_alu instid0(VALU_DEP_4) | instskip(NEXT) | instid1(VALU_DEP_4)
	v_add_f64 v[18:19], v[76:77], -v[18:19]
	v_add_f64 v[20:21], v[74:75], v[20:21]
	v_fract_f64_e32 v[74:75], v[78:79]
	s_delay_alu instid0(VALU_DEP_2) | instskip(NEXT) | instid1(VALU_DEP_2)
	v_add_f64 v[76:77], v[80:81], v[20:21]
	v_dual_cndmask_b32 v75, 0, v75 :: v_dual_cndmask_b32 v74, 0, v74
	s_delay_alu instid0(VALU_DEP_1) | instskip(NEXT) | instid1(VALU_DEP_3)
	v_ldexp_f64 v[74:75], v[74:75], 2
	v_add_f64 v[78:79], v[18:19], v[76:77]
	s_delay_alu instid0(VALU_DEP_1) | instskip(SKIP_1) | instid1(VALU_DEP_2)
	v_add_f64 v[99:100], v[78:79], v[74:75]
	v_add_f64 v[18:19], v[78:79], -v[18:19]
	v_cmp_gt_f64_e32 vcc_lo, 0, v[99:100]
	v_add_f64 v[99:100], v[80:81], -v[101:102]
	s_delay_alu instid0(VALU_DEP_3) | instskip(SKIP_1) | instid1(VALU_DEP_3)
	v_add_f64 v[18:19], v[76:77], -v[18:19]
	v_cndmask_b32_e64 v104, 0, 0x40100000, vcc_lo
	v_add_f64 v[108:109], v[80:81], -v[99:100]
	v_add_f64 v[72:73], v[72:73], -v[99:100]
	s_delay_alu instid0(VALU_DEP_3) | instskip(SKIP_1) | instid1(VALU_DEP_4)
	v_add_f64 v[74:75], v[74:75], v[103:104]
	v_add_f64 v[104:105], v[76:77], -v[80:81]
	v_add_f64 v[99:100], v[101:102], -v[108:109]
	s_delay_alu instid0(VALU_DEP_3) | instskip(NEXT) | instid1(VALU_DEP_3)
	v_add_f64 v[106:107], v[78:79], v[74:75]
	v_add_f64 v[110:111], v[76:77], -v[104:105]
	v_add_f64 v[20:21], v[20:21], -v[104:105]
	s_delay_alu instid0(VALU_DEP_4) | instskip(NEXT) | instid1(VALU_DEP_4)
	v_add_f64 v[72:73], v[72:73], v[99:100]
	v_cvt_i32_f64_e32 v97, v[106:107]
	s_delay_alu instid0(VALU_DEP_4) | instskip(NEXT) | instid1(VALU_DEP_2)
	v_add_f64 v[80:81], v[80:81], -v[110:111]
	v_cvt_f64_i32_e32 v[104:105], v97
	s_delay_alu instid0(VALU_DEP_2) | instskip(NEXT) | instid1(VALU_DEP_2)
	v_add_f64 v[20:21], v[20:21], v[80:81]
	v_add_f64 v[74:75], v[74:75], -v[104:105]
	s_delay_alu instid0(VALU_DEP_2) | instskip(NEXT) | instid1(VALU_DEP_2)
	v_add_f64 v[20:21], v[72:73], v[20:21]
	v_add_f64 v[70:71], v[78:79], v[74:75]
	s_delay_alu instid0(VALU_DEP_2) | instskip(NEXT) | instid1(VALU_DEP_2)
	v_add_f64 v[6:7], v[6:7], v[20:21]
	v_add_f64 v[20:21], v[70:71], -v[74:75]
	v_cmp_le_f64_e32 vcc_lo, 0.5, v[70:71]
	s_delay_alu instid0(VALU_DEP_3) | instskip(NEXT) | instid1(VALU_DEP_3)
	v_add_f64 v[6:7], v[18:19], v[6:7]
	v_add_f64 v[18:19], v[78:79], -v[20:21]
	v_cndmask_b32_e64 v104, 0, 0x3ff00000, vcc_lo
	v_add_co_ci_u32_e64 v97, s4, 0, v97, vcc_lo
	s_delay_alu instid0(VALU_DEP_3) | instskip(NEXT) | instid1(VALU_DEP_3)
	v_add_f64 v[6:7], v[6:7], v[18:19]
	v_add_f64 v[18:19], v[70:71], -v[103:104]
	s_delay_alu instid0(VALU_DEP_1) | instskip(NEXT) | instid1(VALU_DEP_1)
	v_add_f64 v[20:21], v[18:19], v[6:7]
	v_mul_f64 v[70:71], v[20:21], s[6:7]
	v_add_f64 v[18:19], v[20:21], -v[18:19]
	s_delay_alu instid0(VALU_DEP_2) | instskip(NEXT) | instid1(VALU_DEP_2)
	v_fma_f64 v[72:73], v[20:21], s[6:7], -v[70:71]
	v_add_f64 v[6:7], v[6:7], -v[18:19]
	s_delay_alu instid0(VALU_DEP_2) | instskip(NEXT) | instid1(VALU_DEP_1)
	v_fma_f64 v[18:19], v[20:21], s[12:13], v[72:73]
	v_fma_f64 v[6:7], v[6:7], s[6:7], v[18:19]
	s_delay_alu instid0(VALU_DEP_1) | instskip(NEXT) | instid1(VALU_DEP_1)
	v_add_f64 v[78:79], v[70:71], v[6:7]
	v_add_f64 v[18:19], v[78:79], -v[70:71]
	s_delay_alu instid0(VALU_DEP_1)
	v_add_f64 v[80:81], v[6:7], -v[18:19]
	s_and_not1_saveexec_b32 s4, s5
	s_cbranch_execz .LBB0_68
	s_branch .LBB0_67
.LBB0_66:
	s_and_not1_saveexec_b32 s4, s5
	s_cbranch_execz .LBB0_68
.LBB0_67:
	s_mov_b32 s6, 0x6dc9c883
	s_mov_b32 s7, 0x3fe45f30
	;; [unrolled: 1-line block ×3, first 2 shown]
	v_mul_f64 v[6:7], v[56:57], s[6:7]
	s_mov_b32 s6, 0x54442d18
	s_mov_b32 s7, 0xbff921fb
	;; [unrolled: 1-line block ×3, first 2 shown]
	s_delay_alu instid0(VALU_DEP_1) | instskip(NEXT) | instid1(VALU_DEP_1)
	v_rndne_f64_e32 v[6:7], v[6:7]
	v_fma_f64 v[18:19], v[6:7], s[6:7], v[56:57]
	v_mul_f64 v[20:21], v[6:7], s[12:13]
	s_mov_b32 s6, 0x252049c0
	s_mov_b32 s7, 0xb97b839a
	v_cvt_i32_f64_e32 v97, v[6:7]
	s_delay_alu instid0(VALU_DEP_3) | instskip(NEXT) | instid1(VALU_DEP_3)
	v_fma_f64 v[72:73], v[6:7], s[12:13], v[18:19]
	v_add_f64 v[70:71], v[18:19], v[20:21]
	s_mov_b32 s13, 0x3c91a626
	s_delay_alu instid0(VALU_DEP_1) | instskip(NEXT) | instid1(VALU_DEP_3)
	v_add_f64 v[18:19], v[18:19], -v[70:71]
	v_add_f64 v[70:71], v[70:71], -v[72:73]
	s_delay_alu instid0(VALU_DEP_2) | instskip(SKIP_1) | instid1(VALU_DEP_2)
	v_add_f64 v[18:19], v[18:19], v[20:21]
	v_fma_f64 v[20:21], v[6:7], s[12:13], v[20:21]
	v_add_f64 v[18:19], v[70:71], v[18:19]
	s_delay_alu instid0(VALU_DEP_1) | instskip(NEXT) | instid1(VALU_DEP_1)
	v_add_f64 v[18:19], v[18:19], -v[20:21]
	v_fma_f64 v[18:19], v[6:7], s[6:7], v[18:19]
	s_delay_alu instid0(VALU_DEP_1) | instskip(NEXT) | instid1(VALU_DEP_1)
	v_add_f64 v[78:79], v[72:73], v[18:19]
	v_add_f64 v[20:21], v[78:79], -v[72:73]
	s_delay_alu instid0(VALU_DEP_1)
	v_add_f64 v[80:81], v[18:19], -v[20:21]
.LBB0_68:
	s_or_b32 exec_lo, exec_lo, s4
                                        ; implicit-def: $vgpr75
                                        ; implicit-def: $vgpr70_vgpr71
                                        ; implicit-def: $vgpr72_vgpr73
	s_and_saveexec_b32 s4, s11
	s_delay_alu instid0(SALU_CYCLE_1)
	s_xor_b32 s5, exec_lo, s4
	s_cbranch_execz .LBB0_70
; %bb.69:
	v_cmp_le_f64_e64 vcc_lo, 0x7b000000, |v[4:5]|
	v_mov_b32_e32 v105, 0
	s_mov_b32 s6, 0x54442d18
	s_mov_b32 s7, 0x3ff921fb
	s_mov_b32 s12, 0x33145c07
	s_mov_b32 s13, 0x3c91a626
	v_dual_cndmask_b32 v7, v91, v55 :: v_dual_cndmask_b32 v6, v4, v54
	s_delay_alu instid0(VALU_DEP_1) | instskip(SKIP_2) | instid1(VALU_DEP_3)
	v_mul_f64 v[18:19], v[52:53], v[6:7]
	v_mul_f64 v[20:21], v[50:51], v[6:7]
	;; [unrolled: 1-line block ×3, first 2 shown]
	v_fma_f64 v[70:71], v[52:53], v[6:7], -v[18:19]
	s_delay_alu instid0(VALU_DEP_3) | instskip(NEXT) | instid1(VALU_DEP_3)
	v_fma_f64 v[103:104], v[50:51], v[6:7], -v[20:21]
	v_fma_f64 v[6:7], v[44:45], v[6:7], -v[101:102]
	s_delay_alu instid0(VALU_DEP_3) | instskip(NEXT) | instid1(VALU_DEP_1)
	v_add_f64 v[72:73], v[20:21], v[70:71]
	v_add_f64 v[74:75], v[72:73], -v[20:21]
	v_add_f64 v[99:100], v[18:19], v[72:73]
	s_delay_alu instid0(VALU_DEP_2) | instskip(SKIP_1) | instid1(VALU_DEP_3)
	v_add_f64 v[76:77], v[72:73], -v[74:75]
	v_add_f64 v[70:71], v[70:71], -v[74:75]
	v_ldexp_f64 v[74:75], v[99:100], -2
	v_add_f64 v[18:19], v[99:100], -v[18:19]
	s_delay_alu instid0(VALU_DEP_4) | instskip(SKIP_1) | instid1(VALU_DEP_4)
	v_add_f64 v[20:21], v[20:21], -v[76:77]
	v_add_f64 v[76:77], v[101:102], v[103:104]
	v_cmp_neq_f64_e64 vcc_lo, 0x7ff00000, |v[74:75]|
	s_delay_alu instid0(VALU_DEP_4) | instskip(NEXT) | instid1(VALU_DEP_4)
	v_add_f64 v[18:19], v[72:73], -v[18:19]
	v_add_f64 v[20:21], v[70:71], v[20:21]
	v_fract_f64_e32 v[70:71], v[74:75]
	s_delay_alu instid0(VALU_DEP_2) | instskip(NEXT) | instid1(VALU_DEP_2)
	v_add_f64 v[72:73], v[76:77], v[20:21]
	v_dual_cndmask_b32 v71, 0, v71 :: v_dual_cndmask_b32 v70, 0, v70
	s_delay_alu instid0(VALU_DEP_1) | instskip(NEXT) | instid1(VALU_DEP_3)
	v_ldexp_f64 v[70:71], v[70:71], 2
	v_add_f64 v[74:75], v[18:19], v[72:73]
	s_delay_alu instid0(VALU_DEP_1) | instskip(SKIP_1) | instid1(VALU_DEP_2)
	v_add_f64 v[99:100], v[74:75], v[70:71]
	v_add_f64 v[18:19], v[74:75], -v[18:19]
	v_cmp_gt_f64_e32 vcc_lo, 0, v[99:100]
	v_add_f64 v[99:100], v[76:77], -v[101:102]
	s_delay_alu instid0(VALU_DEP_3) | instskip(SKIP_1) | instid1(VALU_DEP_3)
	v_add_f64 v[18:19], v[72:73], -v[18:19]
	v_cndmask_b32_e64 v106, 0, 0x40100000, vcc_lo
	v_add_f64 v[110:111], v[76:77], -v[99:100]
	v_add_f64 v[99:100], v[103:104], -v[99:100]
	s_delay_alu instid0(VALU_DEP_3) | instskip(SKIP_1) | instid1(VALU_DEP_4)
	v_add_f64 v[70:71], v[70:71], v[105:106]
	v_add_f64 v[106:107], v[72:73], -v[76:77]
	v_add_f64 v[103:104], v[101:102], -v[110:111]
	s_delay_alu instid0(VALU_DEP_3) | instskip(NEXT) | instid1(VALU_DEP_3)
	v_add_f64 v[108:109], v[74:75], v[70:71]
	v_add_f64 v[112:113], v[72:73], -v[106:107]
	v_add_f64 v[20:21], v[20:21], -v[106:107]
	s_delay_alu instid0(VALU_DEP_4) | instskip(NEXT) | instid1(VALU_DEP_4)
	v_add_f64 v[99:100], v[99:100], v[103:104]
	v_cvt_i32_f64_e32 v108, v[108:109]
	s_delay_alu instid0(VALU_DEP_4) | instskip(NEXT) | instid1(VALU_DEP_2)
	v_add_f64 v[76:77], v[76:77], -v[112:113]
	v_cvt_f64_i32_e32 v[106:107], v108
	s_delay_alu instid0(VALU_DEP_2) | instskip(NEXT) | instid1(VALU_DEP_2)
	v_add_f64 v[20:21], v[20:21], v[76:77]
	v_add_f64 v[70:71], v[70:71], -v[106:107]
	s_delay_alu instid0(VALU_DEP_2) | instskip(NEXT) | instid1(VALU_DEP_2)
	v_add_f64 v[20:21], v[99:100], v[20:21]
	v_add_f64 v[76:77], v[74:75], v[70:71]
	s_delay_alu instid0(VALU_DEP_2) | instskip(NEXT) | instid1(VALU_DEP_2)
	v_add_f64 v[6:7], v[6:7], v[20:21]
	v_add_f64 v[20:21], v[76:77], -v[70:71]
	v_cmp_le_f64_e32 vcc_lo, 0.5, v[76:77]
	s_delay_alu instid0(VALU_DEP_3) | instskip(NEXT) | instid1(VALU_DEP_3)
	v_add_f64 v[6:7], v[18:19], v[6:7]
	v_add_f64 v[18:19], v[74:75], -v[20:21]
	v_cndmask_b32_e64 v106, 0, 0x3ff00000, vcc_lo
	v_add_co_ci_u32_e64 v75, s4, 0, v108, vcc_lo
	s_delay_alu instid0(VALU_DEP_3) | instskip(NEXT) | instid1(VALU_DEP_3)
	v_add_f64 v[6:7], v[6:7], v[18:19]
	v_add_f64 v[18:19], v[76:77], -v[105:106]
	s_delay_alu instid0(VALU_DEP_1) | instskip(NEXT) | instid1(VALU_DEP_1)
	v_add_f64 v[20:21], v[18:19], v[6:7]
	v_mul_f64 v[72:73], v[20:21], s[6:7]
	v_add_f64 v[18:19], v[20:21], -v[18:19]
	s_delay_alu instid0(VALU_DEP_2) | instskip(NEXT) | instid1(VALU_DEP_2)
	v_fma_f64 v[70:71], v[20:21], s[6:7], -v[72:73]
	v_add_f64 v[6:7], v[6:7], -v[18:19]
	s_delay_alu instid0(VALU_DEP_2) | instskip(NEXT) | instid1(VALU_DEP_1)
	v_fma_f64 v[18:19], v[20:21], s[12:13], v[70:71]
	v_fma_f64 v[6:7], v[6:7], s[6:7], v[18:19]
	s_delay_alu instid0(VALU_DEP_1) | instskip(NEXT) | instid1(VALU_DEP_1)
	v_add_f64 v[70:71], v[72:73], v[6:7]
	v_add_f64 v[18:19], v[70:71], -v[72:73]
	s_delay_alu instid0(VALU_DEP_1)
	v_add_f64 v[72:73], v[6:7], -v[18:19]
	s_and_not1_saveexec_b32 s4, s5
	s_cbranch_execnz .LBB0_71
	s_branch .LBB0_72
.LBB0_70:
	s_and_not1_saveexec_b32 s4, s5
	s_cbranch_execz .LBB0_72
.LBB0_71:
	s_mov_b32 s6, 0x6dc9c883
	s_mov_b32 s7, 0x3fe45f30
	;; [unrolled: 1-line block ×3, first 2 shown]
	v_mul_f64 v[6:7], |v[4:5]|, s[6:7]
	s_mov_b32 s6, 0x54442d18
	s_mov_b32 s7, 0xbff921fb
	;; [unrolled: 1-line block ×3, first 2 shown]
	s_delay_alu instid0(VALU_DEP_1) | instskip(NEXT) | instid1(VALU_DEP_1)
	v_rndne_f64_e32 v[6:7], v[6:7]
	v_fma_f64 v[18:19], v[6:7], s[6:7], |v[4:5]|
	v_mul_f64 v[20:21], v[6:7], s[12:13]
	s_mov_b32 s6, 0x252049c0
	s_mov_b32 s7, 0xb97b839a
	v_cvt_i32_f64_e32 v75, v[6:7]
	s_delay_alu instid0(VALU_DEP_3) | instskip(NEXT) | instid1(VALU_DEP_3)
	v_fma_f64 v[72:73], v[6:7], s[12:13], v[18:19]
	v_add_f64 v[70:71], v[18:19], v[20:21]
	s_mov_b32 s13, 0x3c91a626
	s_delay_alu instid0(VALU_DEP_1) | instskip(NEXT) | instid1(VALU_DEP_3)
	v_add_f64 v[18:19], v[18:19], -v[70:71]
	v_add_f64 v[70:71], v[70:71], -v[72:73]
	s_delay_alu instid0(VALU_DEP_2) | instskip(SKIP_1) | instid1(VALU_DEP_2)
	v_add_f64 v[18:19], v[18:19], v[20:21]
	v_fma_f64 v[20:21], v[6:7], s[12:13], v[20:21]
	v_add_f64 v[18:19], v[70:71], v[18:19]
	s_delay_alu instid0(VALU_DEP_1) | instskip(NEXT) | instid1(VALU_DEP_1)
	v_add_f64 v[18:19], v[18:19], -v[20:21]
	v_fma_f64 v[18:19], v[6:7], s[6:7], v[18:19]
	s_delay_alu instid0(VALU_DEP_1) | instskip(NEXT) | instid1(VALU_DEP_1)
	v_add_f64 v[70:71], v[72:73], v[18:19]
	v_add_f64 v[20:21], v[70:71], -v[72:73]
	s_delay_alu instid0(VALU_DEP_1)
	v_add_f64 v[72:73], v[18:19], -v[20:21]
.LBB0_72:
	s_or_b32 exec_lo, exec_lo, s4
	s_load_b64 s[36:37], s[0:1], 0x0
                                        ; implicit-def: $vgpr74
                                        ; implicit-def: $vgpr18_vgpr19
                                        ; implicit-def: $vgpr20_vgpr21
	s_and_saveexec_b32 s0, s11
	s_delay_alu instid0(SALU_CYCLE_1)
	s_xor_b32 s1, exec_lo, s0
	s_cbranch_execz .LBB0_74
; %bb.73:
	v_cmp_le_f64_e64 vcc_lo, 0x7b000000, |v[4:5]|
	v_mov_b32_e32 v105, 0
	s_mov_b32 s4, 0x54442d18
	s_mov_b32 s5, 0x3ff921fb
	;; [unrolled: 1-line block ×4, first 2 shown]
	v_dual_cndmask_b32 v7, v91, v55 :: v_dual_cndmask_b32 v6, v4, v54
	s_delay_alu instid0(VALU_DEP_1) | instskip(SKIP_2) | instid1(VALU_DEP_3)
	v_mul_f64 v[18:19], v[52:53], v[6:7]
	v_mul_f64 v[20:21], v[50:51], v[6:7]
	;; [unrolled: 1-line block ×3, first 2 shown]
	v_fma_f64 v[52:53], v[52:53], v[6:7], -v[18:19]
	s_delay_alu instid0(VALU_DEP_3) | instskip(NEXT) | instid1(VALU_DEP_3)
	v_fma_f64 v[50:51], v[50:51], v[6:7], -v[20:21]
	v_fma_f64 v[6:7], v[44:45], v[6:7], -v[103:104]
	s_delay_alu instid0(VALU_DEP_3) | instskip(NEXT) | instid1(VALU_DEP_1)
	v_add_f64 v[54:55], v[20:21], v[52:53]
	v_add_f64 v[76:77], v[54:55], -v[20:21]
	v_add_f64 v[101:102], v[18:19], v[54:55]
	s_delay_alu instid0(VALU_DEP_2) | instskip(SKIP_1) | instid1(VALU_DEP_3)
	v_add_f64 v[99:100], v[54:55], -v[76:77]
	v_add_f64 v[52:53], v[52:53], -v[76:77]
	v_ldexp_f64 v[76:77], v[101:102], -2
	v_add_f64 v[18:19], v[101:102], -v[18:19]
	s_delay_alu instid0(VALU_DEP_4) | instskip(SKIP_1) | instid1(VALU_DEP_4)
	v_add_f64 v[20:21], v[20:21], -v[99:100]
	v_add_f64 v[99:100], v[103:104], v[50:51]
	v_cmp_neq_f64_e64 vcc_lo, 0x7ff00000, |v[76:77]|
	s_delay_alu instid0(VALU_DEP_4) | instskip(NEXT) | instid1(VALU_DEP_4)
	v_add_f64 v[18:19], v[54:55], -v[18:19]
	v_add_f64 v[20:21], v[52:53], v[20:21]
	v_fract_f64_e32 v[52:53], v[76:77]
	s_delay_alu instid0(VALU_DEP_2) | instskip(NEXT) | instid1(VALU_DEP_2)
	v_add_f64 v[54:55], v[99:100], v[20:21]
	v_dual_cndmask_b32 v53, 0, v53 :: v_dual_cndmask_b32 v52, 0, v52
	s_delay_alu instid0(VALU_DEP_1) | instskip(NEXT) | instid1(VALU_DEP_3)
	v_ldexp_f64 v[52:53], v[52:53], 2
	v_add_f64 v[76:77], v[18:19], v[54:55]
	s_delay_alu instid0(VALU_DEP_1) | instskip(SKIP_1) | instid1(VALU_DEP_2)
	v_add_f64 v[101:102], v[76:77], v[52:53]
	v_add_f64 v[18:19], v[76:77], -v[18:19]
	v_cmp_gt_f64_e32 vcc_lo, 0, v[101:102]
	v_add_f64 v[101:102], v[99:100], -v[103:104]
	s_delay_alu instid0(VALU_DEP_3) | instskip(SKIP_1) | instid1(VALU_DEP_3)
	v_add_f64 v[18:19], v[54:55], -v[18:19]
	v_cndmask_b32_e64 v106, 0, 0x40100000, vcc_lo
	v_add_f64 v[110:111], v[99:100], -v[101:102]
	v_add_f64 v[50:51], v[50:51], -v[101:102]
	s_delay_alu instid0(VALU_DEP_3) | instskip(SKIP_1) | instid1(VALU_DEP_4)
	v_add_f64 v[52:53], v[52:53], v[105:106]
	v_add_f64 v[106:107], v[54:55], -v[99:100]
	v_add_f64 v[101:102], v[103:104], -v[110:111]
	s_delay_alu instid0(VALU_DEP_3) | instskip(NEXT) | instid1(VALU_DEP_3)
	v_add_f64 v[108:109], v[76:77], v[52:53]
	v_add_f64 v[112:113], v[54:55], -v[106:107]
	v_add_f64 v[20:21], v[20:21], -v[106:107]
	s_delay_alu instid0(VALU_DEP_4) | instskip(NEXT) | instid1(VALU_DEP_4)
	v_add_f64 v[50:51], v[50:51], v[101:102]
	v_cvt_i32_f64_e32 v74, v[108:109]
	s_delay_alu instid0(VALU_DEP_4) | instskip(NEXT) | instid1(VALU_DEP_2)
	v_add_f64 v[99:100], v[99:100], -v[112:113]
	v_cvt_f64_i32_e32 v[106:107], v74
	s_delay_alu instid0(VALU_DEP_2) | instskip(NEXT) | instid1(VALU_DEP_2)
	v_add_f64 v[20:21], v[20:21], v[99:100]
	v_add_f64 v[52:53], v[52:53], -v[106:107]
	s_delay_alu instid0(VALU_DEP_2) | instskip(NEXT) | instid1(VALU_DEP_2)
	v_add_f64 v[20:21], v[50:51], v[20:21]
	v_add_f64 v[44:45], v[76:77], v[52:53]
	s_delay_alu instid0(VALU_DEP_2) | instskip(NEXT) | instid1(VALU_DEP_2)
	v_add_f64 v[6:7], v[6:7], v[20:21]
	v_add_f64 v[20:21], v[44:45], -v[52:53]
	v_cmp_le_f64_e32 vcc_lo, 0.5, v[44:45]
	s_delay_alu instid0(VALU_DEP_3) | instskip(NEXT) | instid1(VALU_DEP_3)
	v_add_f64 v[6:7], v[18:19], v[6:7]
	v_add_f64 v[18:19], v[76:77], -v[20:21]
	v_cndmask_b32_e64 v106, 0, 0x3ff00000, vcc_lo
	v_add_co_ci_u32_e64 v74, s0, 0, v74, vcc_lo
	s_delay_alu instid0(VALU_DEP_3) | instskip(NEXT) | instid1(VALU_DEP_3)
	v_add_f64 v[6:7], v[6:7], v[18:19]
	v_add_f64 v[18:19], v[44:45], -v[105:106]
	s_delay_alu instid0(VALU_DEP_1) | instskip(NEXT) | instid1(VALU_DEP_1)
	v_add_f64 v[20:21], v[18:19], v[6:7]
	v_mul_f64 v[44:45], v[20:21], s[4:5]
	v_add_f64 v[18:19], v[20:21], -v[18:19]
	s_delay_alu instid0(VALU_DEP_2) | instskip(NEXT) | instid1(VALU_DEP_2)
	v_fma_f64 v[50:51], v[20:21], s[4:5], -v[44:45]
	v_add_f64 v[6:7], v[6:7], -v[18:19]
	s_delay_alu instid0(VALU_DEP_2) | instskip(NEXT) | instid1(VALU_DEP_1)
	v_fma_f64 v[18:19], v[20:21], s[6:7], v[50:51]
	v_fma_f64 v[6:7], v[6:7], s[4:5], v[18:19]
	s_delay_alu instid0(VALU_DEP_1) | instskip(NEXT) | instid1(VALU_DEP_1)
	v_add_f64 v[18:19], v[44:45], v[6:7]
	v_add_f64 v[20:21], v[18:19], -v[44:45]
	s_delay_alu instid0(VALU_DEP_1)
	v_add_f64 v[20:21], v[6:7], -v[20:21]
.LBB0_74:
	s_or_saveexec_b32 s0, s1
	v_mul_f64 v[6:7], s[8:9], s[8:9]
	s_xor_b32 exec_lo, exec_lo, s0
	s_cbranch_execz .LBB0_76
; %bb.75:
	s_mov_b32 s4, 0x6dc9c883
	s_mov_b32 s5, 0x3fe45f30
	;; [unrolled: 1-line block ×3, first 2 shown]
	v_mul_f64 v[18:19], |v[4:5]|, s[4:5]
	s_mov_b32 s4, 0x54442d18
	s_mov_b32 s5, 0xbff921fb
	;; [unrolled: 1-line block ×3, first 2 shown]
	s_delay_alu instid0(VALU_DEP_1) | instskip(NEXT) | instid1(VALU_DEP_1)
	v_rndne_f64_e32 v[44:45], v[18:19]
	v_fma_f64 v[18:19], v[44:45], s[4:5], |v[4:5]|
	v_mul_f64 v[20:21], v[44:45], s[6:7]
	s_mov_b32 s4, 0x252049c0
	s_mov_b32 s5, 0xb97b839a
	v_cvt_i32_f64_e32 v74, v[44:45]
	s_delay_alu instid0(VALU_DEP_3) | instskip(NEXT) | instid1(VALU_DEP_3)
	v_fma_f64 v[52:53], v[44:45], s[6:7], v[18:19]
	v_add_f64 v[50:51], v[18:19], v[20:21]
	s_mov_b32 s7, 0x3c91a626
	s_delay_alu instid0(VALU_DEP_1) | instskip(NEXT) | instid1(VALU_DEP_3)
	v_add_f64 v[18:19], v[18:19], -v[50:51]
	v_add_f64 v[50:51], v[50:51], -v[52:53]
	s_delay_alu instid0(VALU_DEP_2) | instskip(SKIP_1) | instid1(VALU_DEP_2)
	v_add_f64 v[18:19], v[18:19], v[20:21]
	v_fma_f64 v[20:21], v[44:45], s[6:7], v[20:21]
	v_add_f64 v[18:19], v[50:51], v[18:19]
	s_delay_alu instid0(VALU_DEP_1) | instskip(NEXT) | instid1(VALU_DEP_1)
	v_add_f64 v[18:19], v[18:19], -v[20:21]
	v_fma_f64 v[20:21], v[44:45], s[4:5], v[18:19]
	s_delay_alu instid0(VALU_DEP_1) | instskip(NEXT) | instid1(VALU_DEP_1)
	v_add_f64 v[18:19], v[52:53], v[20:21]
	v_add_f64 v[50:51], v[18:19], -v[52:53]
	s_delay_alu instid0(VALU_DEP_1)
	v_add_f64 v[20:21], v[20:21], -v[50:51]
.LBB0_76:
	s_or_b32 exec_lo, exec_lo, s0
	v_mul_f64 v[44:45], v[8:9], v[8:9]
	s_mov_b32 s4, 0x9037ab78
	s_mov_b32 s6, 0x46cc5e42
	;; [unrolled: 1-line block ×24, first 2 shown]
	v_cmp_lg_f64_e64 s1, 0x7ff00000, v[56:57]
	v_cmp_class_f64_e64 s0, v[4:5], 0x1f8
	s_mov_b32 s35, 0x3fe55555
	s_mov_b32 s34, s16
	;; [unrolled: 1-line block ×11, first 2 shown]
	v_mul_f64 v[50:51], v[44:45], 0.5
	v_fma_f64 v[76:77], v[44:45], s[6:7], s[4:5]
	s_mov_b32 s46, 0x47e6c9c2
	s_mov_b32 s47, 0x3fc110ef
	;; [unrolled: 1-line block ×36, first 2 shown]
	v_add_f64 v[52:53], -v[50:51], 1.0
	v_fma_f64 v[76:77], v[44:45], v[76:77], s[10:11]
	s_mov_b32 s84, 0x11122322
	s_mov_b32 s85, s27
	;; [unrolled: 1-line block ×8, first 2 shown]
                                        ; implicit-def: $vgpr171 : SGPR spill to VGPR lane
	v_lshl_add_u32 v24, v25, 10, v24
	s_mov_b32 s94, 0x6dc9c883
	s_mov_b32 s96, 0x33145c00
	;; [unrolled: 1-line block ×11, first 2 shown]
	v_mov_b32_e32 v145, 0x3ff00000
	s_delay_alu instid0(VALU_DEP_4) | instskip(NEXT) | instid1(VALU_DEP_4)
	v_add_f64 v[54:55], -v[52:53], 1.0
	v_fma_f64 v[76:77], v[44:45], v[76:77], s[12:13]
	s_delay_alu instid0(VALU_DEP_2) | instskip(NEXT) | instid1(VALU_DEP_2)
	v_add_f64 v[50:51], v[54:55], -v[50:51]
	v_fma_f64 v[76:77], v[44:45], v[76:77], s[14:15]
	v_mul_f64 v[54:55], v[44:45], v[44:45]
	s_delay_alu instid0(VALU_DEP_3) | instskip(NEXT) | instid1(VALU_DEP_3)
	v_fma_f64 v[50:51], v[8:9], -v[82:83], v[50:51]
	v_fma_f64 v[76:77], v[44:45], v[76:77], s[16:17]
	s_delay_alu instid0(VALU_DEP_1) | instskip(SKIP_2) | instid1(VALU_DEP_3)
	v_fma_f64 v[50:51], v[54:55], v[76:77], v[50:51]
	v_mul_f64 v[54:55], v[8:9], -v[44:45]
	v_mul_f64 v[76:77], v[82:83], 0.5
	v_add_f64 v[50:51], v[52:53], v[50:51]
	v_fma_f64 v[52:53], v[44:45], s[20:21], s[18:19]
	s_delay_alu instid0(VALU_DEP_1) | instskip(NEXT) | instid1(VALU_DEP_1)
	v_fma_f64 v[52:53], v[44:45], v[52:53], s[22:23]
	v_fma_f64 v[52:53], v[44:45], v[52:53], s[24:25]
	s_delay_alu instid0(VALU_DEP_1) | instskip(NEXT) | instid1(VALU_DEP_1)
	v_fma_f64 v[52:53], v[44:45], v[52:53], s[26:27]
	v_fma_f64 v[52:53], v[54:55], v[52:53], v[76:77]
	s_delay_alu instid0(VALU_DEP_1) | instskip(NEXT) | instid1(VALU_DEP_1)
	v_fma_f64 v[44:45], v[44:45], v[52:53], -v[82:83]
	v_fma_f64 v[44:45], v[54:55], s[28:29], v[44:45]
	s_delay_alu instid0(VALU_DEP_1) | instskip(SKIP_1) | instid1(VALU_DEP_1)
	v_add_f64 v[8:9], v[8:9], -v[44:45]
	v_and_b32_e32 v44, 1, v98
	v_cmp_eq_u32_e32 vcc_lo, 0, v44
	v_lshlrev_b32_e32 v44, 30, v98
	s_delay_alu instid0(VALU_DEP_1) | instskip(NEXT) | instid1(VALU_DEP_1)
	v_xor_b32_e32 v44, s31, v44
	v_and_b32_e32 v44, 0x80000000, v44
	v_dual_cndmask_b32 v8, v50, v8 :: v_dual_cndmask_b32 v9, v51, v9
	v_mul_f64 v[50:51], v[78:79], v[78:79]
	s_delay_alu instid0(VALU_DEP_2) | instskip(NEXT) | instid1(VALU_DEP_1)
	v_xor_b32_e32 v9, v9, v44
	v_cndmask_b32_e64 v45, 0x7ff80000, v9, s2
	v_cndmask_b32_e64 v9, v92, 0x7ff80000, s3
	s_delay_alu instid0(VALU_DEP_1) | instskip(SKIP_2) | instid1(VALU_DEP_2)
	v_bfi_b32 v9, 0x7fffffff, v9, v29
	v_mul_f64 v[52:53], v[50:51], 0.5
	v_fma_f64 v[76:77], v[50:51], s[6:7], s[4:5]
	v_add_f64 v[54:55], -v[52:53], 1.0
	s_delay_alu instid0(VALU_DEP_2) | instskip(NEXT) | instid1(VALU_DEP_2)
	v_fma_f64 v[76:77], v[50:51], v[76:77], s[10:11]
	v_add_f64 v[56:57], -v[54:55], 1.0
	s_delay_alu instid0(VALU_DEP_2) | instskip(NEXT) | instid1(VALU_DEP_2)
	v_fma_f64 v[76:77], v[50:51], v[76:77], s[12:13]
	v_add_f64 v[52:53], v[56:57], -v[52:53]
	s_delay_alu instid0(VALU_DEP_2) | instskip(SKIP_1) | instid1(VALU_DEP_3)
	v_fma_f64 v[76:77], v[50:51], v[76:77], s[14:15]
	v_mul_f64 v[56:57], v[50:51], v[50:51]
	v_fma_f64 v[52:53], v[78:79], -v[80:81], v[52:53]
	s_delay_alu instid0(VALU_DEP_3) | instskip(NEXT) | instid1(VALU_DEP_1)
	v_fma_f64 v[76:77], v[50:51], v[76:77], s[16:17]
	v_fma_f64 v[52:53], v[56:57], v[76:77], v[52:53]
	v_mul_f64 v[56:57], v[78:79], -v[50:51]
	v_mul_f64 v[76:77], v[80:81], 0.5
	s_delay_alu instid0(VALU_DEP_3) | instskip(SKIP_1) | instid1(VALU_DEP_1)
	v_add_f64 v[52:53], v[54:55], v[52:53]
	v_fma_f64 v[54:55], v[50:51], s[20:21], s[18:19]
	v_fma_f64 v[54:55], v[50:51], v[54:55], s[22:23]
	s_delay_alu instid0(VALU_DEP_1) | instskip(NEXT) | instid1(VALU_DEP_1)
	v_fma_f64 v[54:55], v[50:51], v[54:55], s[24:25]
	v_fma_f64 v[54:55], v[50:51], v[54:55], s[26:27]
	s_delay_alu instid0(VALU_DEP_1) | instskip(NEXT) | instid1(VALU_DEP_1)
	v_fma_f64 v[54:55], v[56:57], v[54:55], v[76:77]
	v_fma_f64 v[50:51], v[50:51], v[54:55], -v[80:81]
	v_and_b32_e32 v54, 1, v97
	s_delay_alu instid0(VALU_DEP_1) | instskip(NEXT) | instid1(VALU_DEP_3)
	v_cmp_eq_u32_e32 vcc_lo, 0, v54
	v_fma_f64 v[50:51], v[56:57], s[28:29], v[50:51]
	s_delay_alu instid0(VALU_DEP_1) | instskip(NEXT) | instid1(VALU_DEP_1)
	v_add_f64 v[50:51], v[78:79], -v[50:51]
	v_cndmask_b32_e32 v50, v52, v50, vcc_lo
	s_delay_alu instid0(VALU_DEP_2) | instskip(SKIP_2) | instid1(VALU_DEP_4)
	v_dual_cndmask_b32 v51, v53, v51 :: v_dual_lshlrev_b32 v52, 30, v97
	v_cndmask_b32_e64 v44, 0, v8, s2
	v_cndmask_b32_e64 v8, v93, 0, s3
	;; [unrolled: 1-line block ×3, first 2 shown]
	s_delay_alu instid0(VALU_DEP_4) | instskip(NEXT) | instid1(VALU_DEP_1)
	v_xor_b32_e32 v52, v52, v9
	v_and_b32_e32 v52, 0x80000000, v52
	s_delay_alu instid0(VALU_DEP_1) | instskip(SKIP_1) | instid1(VALU_DEP_2)
	v_xor_b32_e32 v51, v51, v52
	v_fma_f64 v[52:53], v[2:3], v[2:3], v[6:7]
	v_cndmask_b32_e64 v51, 0x7ff80000, v51, s1
	s_delay_alu instid0(VALU_DEP_1) | instskip(SKIP_1) | instid1(VALU_DEP_4)
	v_mul_f64 v[50:51], -v[44:45], v[50:51]
	v_mul_f64 v[44:45], v[2:3], v[2:3]
	v_cmp_gt_f64_e32 vcc_lo, 0x10000000, v[52:53]
	v_cndmask_b32_e64 v54, 0, 1, vcc_lo
	s_delay_alu instid0(VALU_DEP_1) | instskip(NEXT) | instid1(VALU_DEP_1)
	v_lshlrev_b32_e32 v54, 8, v54
	v_ldexp_f64 v[52:53], v[52:53], v54
	s_delay_alu instid0(VALU_DEP_1) | instskip(SKIP_3) | instid1(VALU_DEP_1)
	v_rsq_f64_e32 v[54:55], v[52:53]
	s_waitcnt_depctr 0xfff
	v_mul_f64 v[56:57], v[52:53], v[54:55]
	v_mul_f64 v[54:55], v[54:55], 0.5
	v_fma_f64 v[76:77], -v[54:55], v[56:57], 0.5
	s_delay_alu instid0(VALU_DEP_1) | instskip(SKIP_1) | instid1(VALU_DEP_2)
	v_fma_f64 v[56:57], v[56:57], v[76:77], v[56:57]
	v_fma_f64 v[54:55], v[54:55], v[76:77], v[54:55]
	v_fma_f64 v[78:79], -v[56:57], v[56:57], v[52:53]
	s_delay_alu instid0(VALU_DEP_1) | instskip(NEXT) | instid1(VALU_DEP_1)
	v_fma_f64 v[56:57], v[78:79], v[54:55], v[56:57]
	v_fma_f64 v[76:77], -v[56:57], v[56:57], v[52:53]
	s_delay_alu instid0(VALU_DEP_1) | instskip(SKIP_2) | instid1(VALU_DEP_2)
	v_fma_f64 v[54:55], v[76:77], v[54:55], v[56:57]
	v_cndmask_b32_e64 v56, 0, 0xffffff80, vcc_lo
	v_cmp_class_f64_e64 vcc_lo, v[52:53], 0x260
	v_ldexp_f64 v[54:55], v[54:55], v56
	s_delay_alu instid0(VALU_DEP_1) | instskip(SKIP_1) | instid1(VALU_DEP_1)
	v_dual_cndmask_b32 v53, v55, v53 :: v_dual_cndmask_b32 v52, v54, v52
	v_mul_f64 v[54:55], v[70:71], v[70:71]
	v_mul_f64 v[56:57], v[54:55], 0.5
	v_fma_f64 v[80:81], v[54:55], s[6:7], s[4:5]
	s_delay_alu instid0(VALU_DEP_2) | instskip(NEXT) | instid1(VALU_DEP_2)
	v_add_f64 v[76:77], -v[56:57], 1.0
	v_fma_f64 v[80:81], v[54:55], v[80:81], s[10:11]
	s_delay_alu instid0(VALU_DEP_2) | instskip(NEXT) | instid1(VALU_DEP_2)
	v_add_f64 v[78:79], -v[76:77], 1.0
	v_fma_f64 v[80:81], v[54:55], v[80:81], s[12:13]
	s_delay_alu instid0(VALU_DEP_2) | instskip(NEXT) | instid1(VALU_DEP_2)
	v_add_f64 v[56:57], v[78:79], -v[56:57]
	v_fma_f64 v[80:81], v[54:55], v[80:81], s[14:15]
	v_mul_f64 v[78:79], v[54:55], v[54:55]
	s_delay_alu instid0(VALU_DEP_3) | instskip(NEXT) | instid1(VALU_DEP_3)
	v_fma_f64 v[56:57], v[70:71], -v[72:73], v[56:57]
	v_fma_f64 v[80:81], v[54:55], v[80:81], s[16:17]
	s_delay_alu instid0(VALU_DEP_1) | instskip(SKIP_2) | instid1(VALU_DEP_3)
	v_fma_f64 v[56:57], v[78:79], v[80:81], v[56:57]
	v_mul_f64 v[78:79], v[70:71], -v[54:55]
	v_mul_f64 v[80:81], v[72:73], 0.5
	v_add_f64 v[56:57], v[76:77], v[56:57]
	v_fma_f64 v[76:77], v[54:55], s[20:21], s[18:19]
	s_delay_alu instid0(VALU_DEP_1) | instskip(NEXT) | instid1(VALU_DEP_1)
	v_fma_f64 v[76:77], v[54:55], v[76:77], s[22:23]
	v_fma_f64 v[76:77], v[54:55], v[76:77], s[24:25]
	s_delay_alu instid0(VALU_DEP_1) | instskip(NEXT) | instid1(VALU_DEP_1)
	v_fma_f64 v[76:77], v[54:55], v[76:77], s[26:27]
	v_fma_f64 v[76:77], v[78:79], v[76:77], v[80:81]
	v_mov_b32_e32 v80, 0
	v_mov_b32_e32 v81, 0x3fe00000
	s_delay_alu instid0(VALU_DEP_3) | instskip(NEXT) | instid1(VALU_DEP_1)
	v_fma_f64 v[54:55], v[54:55], v[76:77], -v[72:73]
	v_fma_f64 v[54:55], v[78:79], s[28:29], v[54:55]
	s_delay_alu instid0(VALU_DEP_1) | instskip(SKIP_1) | instid1(VALU_DEP_1)
	v_add_f64 v[54:55], v[70:71], -v[54:55]
	v_and_b32_e32 v70, 1, v75
	v_cmp_eq_u32_e32 vcc_lo, 0, v70
	s_delay_alu instid0(VALU_DEP_3) | instskip(SKIP_2) | instid1(VALU_DEP_3)
	v_cndmask_b32_e32 v54, v56, v54, vcc_lo
	v_lshlrev_b32_e32 v56, 30, v75
	v_cndmask_b32_e32 v55, v57, v55, vcc_lo
	v_cndmask_b32_e64 v54, 0, v54, s0
	s_delay_alu instid0(VALU_DEP_3) | instskip(NEXT) | instid1(VALU_DEP_1)
	v_xor_b32_e32 v56, v56, v5
	v_and_b32_e32 v56, 0x80000000, v56
	s_delay_alu instid0(VALU_DEP_1) | instskip(NEXT) | instid1(VALU_DEP_1)
	v_xor_b32_e32 v55, v55, v56
	v_cndmask_b32_e64 v55, 0x7ff80000, v55, s0
	s_delay_alu instid0(VALU_DEP_1) | instskip(NEXT) | instid1(VALU_DEP_1)
	v_mul_f64 v[54:55], v[52:53], v[54:55]
	v_div_scale_f64 v[56:57], null, v[54:55], v[54:55], v[50:51]
	s_delay_alu instid0(VALU_DEP_1) | instskip(SKIP_2) | instid1(VALU_DEP_1)
	v_rcp_f64_e32 v[70:71], v[56:57]
	s_waitcnt_depctr 0xfff
	v_fma_f64 v[72:73], -v[56:57], v[70:71], 1.0
	v_fma_f64 v[70:71], v[70:71], v[72:73], v[70:71]
	s_delay_alu instid0(VALU_DEP_1) | instskip(NEXT) | instid1(VALU_DEP_1)
	v_fma_f64 v[72:73], -v[56:57], v[70:71], 1.0
	v_fma_f64 v[70:71], v[70:71], v[72:73], v[70:71]
	v_div_scale_f64 v[72:73], vcc_lo, v[50:51], v[54:55], v[50:51]
	s_delay_alu instid0(VALU_DEP_1) | instskip(NEXT) | instid1(VALU_DEP_1)
	v_mul_f64 v[75:76], v[72:73], v[70:71]
	v_fma_f64 v[56:57], -v[56:57], v[75:76], v[72:73]
	s_delay_alu instid0(VALU_DEP_1) | instskip(NEXT) | instid1(VALU_DEP_1)
	v_div_fmas_f64 v[56:57], v[56:57], v[70:71], v[75:76]
	v_div_fixup_f64 v[50:51], v[56:57], v[54:55], v[50:51]
	v_mul_f64 v[54:55], v[66:67], v[66:67]
	s_delay_alu instid0(VALU_DEP_1) | instskip(SKIP_1) | instid1(VALU_DEP_2)
	v_mul_f64 v[56:57], v[54:55], 0.5
	v_fma_f64 v[75:76], v[54:55], s[6:7], s[4:5]
	v_add_f64 v[70:71], -v[56:57], 1.0
	s_delay_alu instid0(VALU_DEP_2) | instskip(NEXT) | instid1(VALU_DEP_2)
	v_fma_f64 v[75:76], v[54:55], v[75:76], s[10:11]
	v_add_f64 v[72:73], -v[70:71], 1.0
	s_delay_alu instid0(VALU_DEP_2) | instskip(NEXT) | instid1(VALU_DEP_2)
	v_fma_f64 v[75:76], v[54:55], v[75:76], s[12:13]
	v_add_f64 v[56:57], v[72:73], -v[56:57]
	s_delay_alu instid0(VALU_DEP_2) | instskip(SKIP_1) | instid1(VALU_DEP_3)
	v_fma_f64 v[75:76], v[54:55], v[75:76], s[14:15]
	v_mul_f64 v[72:73], v[54:55], v[54:55]
	v_fma_f64 v[56:57], v[66:67], -v[68:69], v[56:57]
	s_delay_alu instid0(VALU_DEP_3) | instskip(NEXT) | instid1(VALU_DEP_1)
	v_fma_f64 v[75:76], v[54:55], v[75:76], s[16:17]
	v_fma_f64 v[56:57], v[72:73], v[75:76], v[56:57]
	v_mul_f64 v[72:73], v[66:67], -v[54:55]
	v_mul_f64 v[75:76], v[68:69], 0.5
	s_delay_alu instid0(VALU_DEP_3) | instskip(SKIP_1) | instid1(VALU_DEP_1)
	v_add_f64 v[56:57], v[70:71], v[56:57]
	v_fma_f64 v[70:71], v[54:55], s[20:21], s[18:19]
	v_fma_f64 v[70:71], v[54:55], v[70:71], s[22:23]
	s_delay_alu instid0(VALU_DEP_1) | instskip(NEXT) | instid1(VALU_DEP_1)
	v_fma_f64 v[70:71], v[54:55], v[70:71], s[24:25]
	v_fma_f64 v[70:71], v[54:55], v[70:71], s[26:27]
	s_delay_alu instid0(VALU_DEP_1) | instskip(NEXT) | instid1(VALU_DEP_1)
	v_fma_f64 v[70:71], v[72:73], v[70:71], v[75:76]
	v_fma_f64 v[54:55], v[54:55], v[70:71], -v[68:69]
	s_delay_alu instid0(VALU_DEP_1) | instskip(NEXT) | instid1(VALU_DEP_1)
	v_fma_f64 v[54:55], v[72:73], s[28:29], v[54:55]
	v_add_f64 v[54:55], v[66:67], -v[54:55]
	v_and_b32_e32 v66, 1, v96
	s_delay_alu instid0(VALU_DEP_1) | instskip(NEXT) | instid1(VALU_DEP_3)
	v_cmp_eq_u32_e32 vcc_lo, 0, v66
	v_xor_b32_e32 v55, 0x80000000, v55
	s_delay_alu instid0(VALU_DEP_4) | instskip(NEXT) | instid1(VALU_DEP_2)
	v_cndmask_b32_e32 v54, v54, v56, vcc_lo
	v_dual_cndmask_b32 v55, v55, v57 :: v_dual_lshlrev_b32 v56, 30, v96
	s_delay_alu instid0(VALU_DEP_2) | instskip(NEXT) | instid1(VALU_DEP_2)
	v_cndmask_b32_e64 v54, 0, v54, s2
	v_and_b32_e32 v56, 0x80000000, v56
	s_delay_alu instid0(VALU_DEP_1) | instskip(SKIP_1) | instid1(VALU_DEP_2)
	v_xor_b32_e32 v55, v55, v56
	v_mul_f64 v[56:57], v[22:23], v[22:23]
	v_cndmask_b32_e64 v55, 0x7ff80000, v55, s2
	s_delay_alu instid0(VALU_DEP_1) | instskip(NEXT) | instid1(VALU_DEP_3)
	v_mul_f64 v[54:55], v[2:3], v[54:55]
	v_mul_f64 v[66:67], v[56:57], 0.5
	v_fma_f64 v[72:73], v[56:57], s[6:7], s[4:5]
	s_delay_alu instid0(VALU_DEP_2) | instskip(NEXT) | instid1(VALU_DEP_2)
	v_add_f64 v[68:69], -v[66:67], 1.0
	v_fma_f64 v[72:73], v[56:57], v[72:73], s[10:11]
	s_delay_alu instid0(VALU_DEP_2) | instskip(NEXT) | instid1(VALU_DEP_2)
	v_add_f64 v[70:71], -v[68:69], 1.0
	v_fma_f64 v[72:73], v[56:57], v[72:73], s[12:13]
	s_delay_alu instid0(VALU_DEP_2) | instskip(NEXT) | instid1(VALU_DEP_2)
	v_add_f64 v[66:67], v[70:71], -v[66:67]
	v_fma_f64 v[72:73], v[56:57], v[72:73], s[14:15]
	v_mul_f64 v[70:71], v[56:57], v[56:57]
	s_delay_alu instid0(VALU_DEP_3) | instskip(NEXT) | instid1(VALU_DEP_3)
	v_fma_f64 v[66:67], v[22:23], -v[30:31], v[66:67]
	v_fma_f64 v[72:73], v[56:57], v[72:73], s[16:17]
	s_delay_alu instid0(VALU_DEP_1) | instskip(SKIP_2) | instid1(VALU_DEP_3)
	v_fma_f64 v[66:67], v[70:71], v[72:73], v[66:67]
	v_mul_f64 v[70:71], v[22:23], -v[56:57]
	v_mul_f64 v[72:73], v[30:31], 0.5
	v_add_f64 v[66:67], v[68:69], v[66:67]
	v_fma_f64 v[68:69], v[56:57], s[20:21], s[18:19]
	s_delay_alu instid0(VALU_DEP_1) | instskip(NEXT) | instid1(VALU_DEP_1)
	v_fma_f64 v[68:69], v[56:57], v[68:69], s[22:23]
	v_fma_f64 v[68:69], v[56:57], v[68:69], s[24:25]
	s_delay_alu instid0(VALU_DEP_1) | instskip(NEXT) | instid1(VALU_DEP_1)
	v_fma_f64 v[68:69], v[56:57], v[68:69], s[26:27]
	v_fma_f64 v[68:69], v[70:71], v[68:69], v[72:73]
	s_delay_alu instid0(VALU_DEP_1) | instskip(NEXT) | instid1(VALU_DEP_1)
	v_fma_f64 v[30:31], v[56:57], v[68:69], -v[30:31]
	v_fma_f64 v[30:31], v[70:71], s[28:29], v[30:31]
	s_delay_alu instid0(VALU_DEP_1) | instskip(SKIP_1) | instid1(VALU_DEP_1)
	v_add_f64 v[22:23], v[22:23], -v[30:31]
	v_and_b32_e32 v30, 1, v86
	v_cmp_eq_u32_e32 vcc_lo, 0, v30
	v_lshlrev_b32_e32 v30, 30, v86
	s_delay_alu instid0(VALU_DEP_1) | instskip(NEXT) | instid1(VALU_DEP_1)
	v_xor_b32_e32 v30, s31, v30
	v_dual_cndmask_b32 v23, v67, v23 :: v_dual_and_b32 v30, 0x80000000, v30
	v_cndmask_b32_e32 v22, v66, v22, vcc_lo
	s_delay_alu instid0(VALU_DEP_2) | instskip(SKIP_1) | instid1(VALU_DEP_3)
	v_xor_b32_e32 v23, v23, v30
	v_mul_f64 v[30:31], v[46:47], v[46:47]
	v_cndmask_b32_e64 v22, 0, v22, s2
	s_delay_alu instid0(VALU_DEP_3) | instskip(NEXT) | instid1(VALU_DEP_3)
	v_cndmask_b32_e64 v23, 0x7ff80000, v23, s2
	v_mul_f64 v[56:57], v[30:31], 0.5
	v_fma_f64 v[70:71], v[30:31], s[6:7], s[4:5]
	s_delay_alu instid0(VALU_DEP_2) | instskip(NEXT) | instid1(VALU_DEP_2)
	v_add_f64 v[66:67], -v[56:57], 1.0
	v_fma_f64 v[70:71], v[30:31], v[70:71], s[10:11]
	s_delay_alu instid0(VALU_DEP_2) | instskip(NEXT) | instid1(VALU_DEP_2)
	v_add_f64 v[68:69], -v[66:67], 1.0
	v_fma_f64 v[70:71], v[30:31], v[70:71], s[12:13]
	s_delay_alu instid0(VALU_DEP_2) | instskip(NEXT) | instid1(VALU_DEP_2)
	v_add_f64 v[56:57], v[68:69], -v[56:57]
	v_fma_f64 v[70:71], v[30:31], v[70:71], s[14:15]
	v_mul_f64 v[68:69], v[30:31], v[30:31]
	s_delay_alu instid0(VALU_DEP_3) | instskip(NEXT) | instid1(VALU_DEP_3)
	v_fma_f64 v[56:57], v[46:47], -v[48:49], v[56:57]
	v_fma_f64 v[70:71], v[30:31], v[70:71], s[16:17]
	s_delay_alu instid0(VALU_DEP_1) | instskip(SKIP_2) | instid1(VALU_DEP_3)
	v_fma_f64 v[56:57], v[68:69], v[70:71], v[56:57]
	v_mul_f64 v[68:69], v[46:47], -v[30:31]
	v_mul_f64 v[70:71], v[48:49], 0.5
	v_add_f64 v[56:57], v[66:67], v[56:57]
	v_fma_f64 v[66:67], v[30:31], s[20:21], s[18:19]
	s_delay_alu instid0(VALU_DEP_1) | instskip(NEXT) | instid1(VALU_DEP_1)
	v_fma_f64 v[66:67], v[30:31], v[66:67], s[22:23]
	v_fma_f64 v[66:67], v[30:31], v[66:67], s[24:25]
	s_delay_alu instid0(VALU_DEP_1) | instskip(NEXT) | instid1(VALU_DEP_1)
	v_fma_f64 v[66:67], v[30:31], v[66:67], s[26:27]
	v_fma_f64 v[66:67], v[68:69], v[66:67], v[70:71]
	s_delay_alu instid0(VALU_DEP_1) | instskip(NEXT) | instid1(VALU_DEP_1)
	v_fma_f64 v[30:31], v[30:31], v[66:67], -v[48:49]
	v_fma_f64 v[30:31], v[68:69], s[28:29], v[30:31]
	s_delay_alu instid0(VALU_DEP_1) | instskip(SKIP_1) | instid1(VALU_DEP_1)
	v_add_f64 v[30:31], v[46:47], -v[30:31]
	v_and_b32_e32 v46, 1, v90
	v_cmp_eq_u32_e32 vcc_lo, 0, v46
	v_lshlrev_b32_e32 v46, 30, v90
	s_delay_alu instid0(VALU_DEP_1) | instskip(SKIP_1) | instid1(VALU_DEP_1)
	v_and_b32_e32 v46, 0x80000000, v46
	v_xor_b32_e32 v31, 0x80000000, v31
	v_dual_cndmask_b32 v30, v30, v56 :: v_dual_cndmask_b32 v31, v31, v57
	s_delay_alu instid0(VALU_DEP_1) | instskip(NEXT) | instid1(VALU_DEP_2)
	v_cndmask_b32_e64 v30, 0, v30, s1
	v_xor_b32_e32 v31, v31, v46
	s_delay_alu instid0(VALU_DEP_1) | instskip(NEXT) | instid1(VALU_DEP_1)
	v_cndmask_b32_e64 v31, 0x7ff80000, v31, s1
	v_mul_f64 v[22:23], -v[22:23], v[30:31]
	v_mul_f64 v[30:31], v[62:63], v[62:63]
	s_delay_alu instid0(VALU_DEP_1) | instskip(SKIP_1) | instid1(VALU_DEP_2)
	v_mul_f64 v[46:47], v[30:31], 0.5
	v_fma_f64 v[66:67], v[30:31], s[6:7], s[4:5]
	v_add_f64 v[48:49], -v[46:47], 1.0
	s_delay_alu instid0(VALU_DEP_2) | instskip(NEXT) | instid1(VALU_DEP_2)
	v_fma_f64 v[66:67], v[30:31], v[66:67], s[10:11]
	v_add_f64 v[56:57], -v[48:49], 1.0
	s_delay_alu instid0(VALU_DEP_2) | instskip(NEXT) | instid1(VALU_DEP_2)
	v_fma_f64 v[66:67], v[30:31], v[66:67], s[12:13]
	v_add_f64 v[46:47], v[56:57], -v[46:47]
	s_delay_alu instid0(VALU_DEP_2) | instskip(SKIP_1) | instid1(VALU_DEP_3)
	v_fma_f64 v[66:67], v[30:31], v[66:67], s[14:15]
	v_mul_f64 v[56:57], v[30:31], v[30:31]
	v_fma_f64 v[46:47], v[62:63], -v[64:65], v[46:47]
	s_delay_alu instid0(VALU_DEP_3) | instskip(NEXT) | instid1(VALU_DEP_1)
	v_fma_f64 v[66:67], v[30:31], v[66:67], s[16:17]
	v_fma_f64 v[46:47], v[56:57], v[66:67], v[46:47]
	v_mul_f64 v[56:57], v[62:63], -v[30:31]
	v_mul_f64 v[66:67], v[64:65], 0.5
	s_delay_alu instid0(VALU_DEP_3) | instskip(SKIP_1) | instid1(VALU_DEP_1)
	v_add_f64 v[46:47], v[48:49], v[46:47]
	v_fma_f64 v[48:49], v[30:31], s[20:21], s[18:19]
	v_fma_f64 v[48:49], v[30:31], v[48:49], s[22:23]
	s_delay_alu instid0(VALU_DEP_1) | instskip(NEXT) | instid1(VALU_DEP_1)
	v_fma_f64 v[48:49], v[30:31], v[48:49], s[24:25]
	v_fma_f64 v[48:49], v[30:31], v[48:49], s[26:27]
	s_delay_alu instid0(VALU_DEP_1) | instskip(NEXT) | instid1(VALU_DEP_1)
	v_fma_f64 v[48:49], v[56:57], v[48:49], v[66:67]
	v_fma_f64 v[30:31], v[30:31], v[48:49], -v[64:65]
	v_and_b32_e32 v48, 1, v95
	s_delay_alu instid0(VALU_DEP_1) | instskip(SKIP_1) | instid1(VALU_DEP_4)
	v_cmp_eq_u32_e32 vcc_lo, 0, v48
	v_mul_f64 v[48:49], v[10:11], v[10:11]
	v_fma_f64 v[30:31], v[56:57], s[28:29], v[30:31]
	s_delay_alu instid0(VALU_DEP_2) | instskip(SKIP_1) | instid1(VALU_DEP_3)
	v_mul_f64 v[56:57], v[48:49], 0.5
	v_fma_f64 v[66:67], v[48:49], s[6:7], s[4:5]
	v_add_f64 v[30:31], v[62:63], -v[30:31]
	s_delay_alu instid0(VALU_DEP_3) | instskip(NEXT) | instid1(VALU_DEP_3)
	v_add_f64 v[62:63], -v[56:57], 1.0
	v_fma_f64 v[66:67], v[48:49], v[66:67], s[10:11]
	s_delay_alu instid0(VALU_DEP_3) | instskip(SKIP_1) | instid1(VALU_DEP_2)
	v_dual_cndmask_b32 v30, v46, v30 :: v_dual_cndmask_b32 v31, v47, v31
	v_lshlrev_b32_e32 v46, 30, v95
	v_cndmask_b32_e64 v30, 0, v30, s0
	v_add_f64 v[64:65], -v[62:63], 1.0
	v_fma_f64 v[66:67], v[48:49], v[66:67], s[12:13]
	s_delay_alu instid0(VALU_DEP_4) | instskip(NEXT) | instid1(VALU_DEP_1)
	v_xor_b32_e32 v46, v46, v5
	v_and_b32_e32 v46, 0x80000000, v46
	s_delay_alu instid0(VALU_DEP_1) | instskip(NEXT) | instid1(VALU_DEP_1)
	v_xor_b32_e32 v31, v31, v46
	v_cndmask_b32_e64 v31, 0x7ff80000, v31, s0
	v_add_f64 v[56:57], v[64:65], -v[56:57]
	v_fma_f64 v[66:67], v[48:49], v[66:67], s[14:15]
	v_mul_f64 v[64:65], v[48:49], v[48:49]
	s_delay_alu instid0(VALU_DEP_3) | instskip(NEXT) | instid1(VALU_DEP_3)
	v_fma_f64 v[56:57], v[10:11], -v[12:13], v[56:57]
	v_fma_f64 v[66:67], v[48:49], v[66:67], s[16:17]
	s_delay_alu instid0(VALU_DEP_1) | instskip(SKIP_2) | instid1(VALU_DEP_3)
	v_fma_f64 v[56:57], v[64:65], v[66:67], v[56:57]
	v_mul_f64 v[64:65], v[10:11], -v[48:49]
	v_mul_f64 v[66:67], v[12:13], 0.5
	v_add_f64 v[56:57], v[62:63], v[56:57]
	v_fma_f64 v[62:63], v[48:49], s[20:21], s[18:19]
	s_delay_alu instid0(VALU_DEP_1) | instskip(NEXT) | instid1(VALU_DEP_1)
	v_fma_f64 v[62:63], v[48:49], v[62:63], s[22:23]
	v_fma_f64 v[62:63], v[48:49], v[62:63], s[24:25]
	s_delay_alu instid0(VALU_DEP_1) | instskip(NEXT) | instid1(VALU_DEP_1)
	v_fma_f64 v[62:63], v[48:49], v[62:63], s[26:27]
	v_fma_f64 v[62:63], v[64:65], v[62:63], v[66:67]
	s_delay_alu instid0(VALU_DEP_1) | instskip(NEXT) | instid1(VALU_DEP_1)
	v_fma_f64 v[12:13], v[48:49], v[62:63], -v[12:13]
	v_fma_f64 v[12:13], v[64:65], s[28:29], v[12:13]
	s_delay_alu instid0(VALU_DEP_1) | instskip(SKIP_1) | instid1(VALU_DEP_1)
	v_add_f64 v[10:11], v[10:11], -v[12:13]
	v_and_b32_e32 v12, 1, v84
	v_cmp_eq_u32_e32 vcc_lo, 0, v12
	v_lshlrev_b32_e32 v12, 30, v84
	s_delay_alu instid0(VALU_DEP_1) | instskip(SKIP_1) | instid1(VALU_DEP_1)
	v_and_b32_e32 v12, 0x80000000, v12
	v_xor_b32_e32 v11, 0x80000000, v11
	v_dual_cndmask_b32 v10, v10, v56 :: v_dual_cndmask_b32 v11, v11, v57
	s_delay_alu instid0(VALU_DEP_1) | instskip(NEXT) | instid1(VALU_DEP_2)
	v_cndmask_b32_e64 v10, 0, v10, s0
	v_xor_b32_e32 v11, v11, v12
	v_mul_f64 v[12:13], v[14:15], v[14:15]
	s_delay_alu instid0(VALU_DEP_2) | instskip(NEXT) | instid1(VALU_DEP_1)
	v_cndmask_b32_e64 v11, 0x7ff80000, v11, s0
	v_mul_f64 v[10:11], s[8:9], v[10:11]
	s_delay_alu instid0(VALU_DEP_3) | instskip(SKIP_1) | instid1(VALU_DEP_2)
	v_mul_f64 v[48:49], v[12:13], 0.5
	v_fma_f64 v[64:65], v[12:13], s[6:7], s[4:5]
	v_add_f64 v[56:57], -v[48:49], 1.0
	s_delay_alu instid0(VALU_DEP_2) | instskip(NEXT) | instid1(VALU_DEP_2)
	v_fma_f64 v[64:65], v[12:13], v[64:65], s[10:11]
	v_add_f64 v[62:63], -v[56:57], 1.0
	s_delay_alu instid0(VALU_DEP_2) | instskip(NEXT) | instid1(VALU_DEP_2)
	v_fma_f64 v[64:65], v[12:13], v[64:65], s[12:13]
	v_add_f64 v[48:49], v[62:63], -v[48:49]
	s_delay_alu instid0(VALU_DEP_2) | instskip(SKIP_1) | instid1(VALU_DEP_3)
	v_fma_f64 v[64:65], v[12:13], v[64:65], s[14:15]
	v_mul_f64 v[62:63], v[12:13], v[12:13]
	v_fma_f64 v[48:49], v[14:15], -v[16:17], v[48:49]
	s_delay_alu instid0(VALU_DEP_3) | instskip(NEXT) | instid1(VALU_DEP_1)
	v_fma_f64 v[64:65], v[12:13], v[64:65], s[16:17]
	v_fma_f64 v[48:49], v[62:63], v[64:65], v[48:49]
	v_mul_f64 v[62:63], v[14:15], -v[12:13]
	v_mul_f64 v[64:65], v[16:17], 0.5
	s_delay_alu instid0(VALU_DEP_3) | instskip(SKIP_1) | instid1(VALU_DEP_1)
	v_add_f64 v[48:49], v[56:57], v[48:49]
	v_fma_f64 v[56:57], v[12:13], s[20:21], s[18:19]
	v_fma_f64 v[56:57], v[12:13], v[56:57], s[22:23]
	s_delay_alu instid0(VALU_DEP_1) | instskip(NEXT) | instid1(VALU_DEP_1)
	v_fma_f64 v[56:57], v[12:13], v[56:57], s[24:25]
	v_fma_f64 v[56:57], v[12:13], v[56:57], s[26:27]
	s_delay_alu instid0(VALU_DEP_1) | instskip(NEXT) | instid1(VALU_DEP_1)
	v_fma_f64 v[56:57], v[62:63], v[56:57], v[64:65]
	v_fma_f64 v[12:13], v[12:13], v[56:57], -v[16:17]
	s_delay_alu instid0(VALU_DEP_1) | instskip(NEXT) | instid1(VALU_DEP_1)
	v_fma_f64 v[12:13], v[62:63], s[28:29], v[12:13]
	v_add_f64 v[12:13], v[14:15], -v[12:13]
	v_and_b32_e32 v14, 1, v85
	s_delay_alu instid0(VALU_DEP_1) | instskip(SKIP_1) | instid1(VALU_DEP_1)
	v_cmp_eq_u32_e32 vcc_lo, 0, v14
	v_lshlrev_b32_e32 v14, 30, v85
	v_and_b32_e32 v14, 0x80000000, v14
	v_xor_b32_e32 v13, 0x80000000, v13
	s_delay_alu instid0(VALU_DEP_1) | instskip(NEXT) | instid1(VALU_DEP_1)
	v_dual_cndmask_b32 v12, v12, v48 :: v_dual_cndmask_b32 v13, v13, v49
	v_cndmask_b32_e64 v12, 0, v12, s0
	v_mul_f64 v[46:47], v[52:53], v[22:23]
	s_delay_alu instid0(VALU_DEP_3) | instskip(NEXT) | instid1(VALU_DEP_1)
	v_xor_b32_e32 v13, v13, v14
	v_cndmask_b32_e64 v13, 0x7ff80000, v13, s0
	s_delay_alu instid0(VALU_DEP_1) | instskip(NEXT) | instid1(VALU_DEP_1)
	v_mul_f64 v[12:13], s[8:9], v[12:13]
	v_fma_f64 v[14:15], v[10:11], v[12:13], v[44:45]
	v_mul_f64 v[10:11], v[58:59], v[58:59]
	s_delay_alu instid0(VALU_DEP_1) | instskip(SKIP_1) | instid1(VALU_DEP_2)
	v_mul_f64 v[12:13], v[10:11], 0.5
	v_fma_f64 v[56:57], v[10:11], s[6:7], s[4:5]
	v_add_f64 v[16:17], -v[12:13], 1.0
	s_delay_alu instid0(VALU_DEP_2) | instskip(NEXT) | instid1(VALU_DEP_2)
	v_fma_f64 v[56:57], v[10:11], v[56:57], s[10:11]
	v_add_f64 v[48:49], -v[16:17], 1.0
	s_delay_alu instid0(VALU_DEP_2) | instskip(NEXT) | instid1(VALU_DEP_2)
	v_fma_f64 v[56:57], v[10:11], v[56:57], s[12:13]
	v_add_f64 v[12:13], v[48:49], -v[12:13]
	s_delay_alu instid0(VALU_DEP_2) | instskip(SKIP_1) | instid1(VALU_DEP_3)
	v_fma_f64 v[56:57], v[10:11], v[56:57], s[14:15]
	v_mul_f64 v[48:49], v[10:11], v[10:11]
	v_fma_f64 v[12:13], v[58:59], -v[60:61], v[12:13]
	s_delay_alu instid0(VALU_DEP_3) | instskip(NEXT) | instid1(VALU_DEP_1)
	v_fma_f64 v[56:57], v[10:11], v[56:57], s[16:17]
	v_fma_f64 v[12:13], v[48:49], v[56:57], v[12:13]
	v_mul_f64 v[48:49], v[58:59], -v[10:11]
	v_mul_f64 v[56:57], v[60:61], 0.5
	s_delay_alu instid0(VALU_DEP_3) | instskip(SKIP_1) | instid1(VALU_DEP_1)
	v_add_f64 v[12:13], v[16:17], v[12:13]
	v_fma_f64 v[16:17], v[10:11], s[20:21], s[18:19]
	v_fma_f64 v[16:17], v[10:11], v[16:17], s[22:23]
	s_delay_alu instid0(VALU_DEP_1) | instskip(NEXT) | instid1(VALU_DEP_1)
	v_fma_f64 v[16:17], v[10:11], v[16:17], s[24:25]
	v_fma_f64 v[16:17], v[10:11], v[16:17], s[26:27]
	s_delay_alu instid0(VALU_DEP_1) | instskip(NEXT) | instid1(VALU_DEP_1)
	v_fma_f64 v[16:17], v[48:49], v[16:17], v[56:57]
	v_fma_f64 v[10:11], v[10:11], v[16:17], -v[60:61]
	v_and_b32_e32 v16, 1, v94
	s_delay_alu instid0(VALU_DEP_1) | instskip(NEXT) | instid1(VALU_DEP_3)
	v_cmp_eq_u32_e32 vcc_lo, 0, v16
	v_fma_f64 v[10:11], v[48:49], s[28:29], v[10:11]
	s_delay_alu instid0(VALU_DEP_1) | instskip(NEXT) | instid1(VALU_DEP_1)
	v_add_f64 v[10:11], v[58:59], -v[10:11]
	v_xor_b32_e32 v11, 0x80000000, v11
	s_delay_alu instid0(VALU_DEP_2) | instskip(NEXT) | instid1(VALU_DEP_2)
	v_cndmask_b32_e32 v10, v10, v12, vcc_lo
	v_dual_cndmask_b32 v11, v11, v13 :: v_dual_lshlrev_b32 v12, 30, v94
	s_delay_alu instid0(VALU_DEP_2) | instskip(NEXT) | instid1(VALU_DEP_2)
	v_cndmask_b32_e64 v10, 0, v10, s0
	v_and_b32_e32 v12, 0x80000000, v12
	s_delay_alu instid0(VALU_DEP_1) | instskip(NEXT) | instid1(VALU_DEP_1)
	v_xor_b32_e32 v11, v11, v12
	v_cndmask_b32_e64 v11, 0x7ff80000, v11, s0
	s_delay_alu instid0(VALU_DEP_1) | instskip(NEXT) | instid1(VALU_DEP_1)
	v_mul_f64 v[10:11], v[46:47], v[10:11]
	v_fma_f64 v[10:11], v[54:55], v[30:31], v[10:11]
	s_delay_alu instid0(VALU_DEP_1) | instskip(NEXT) | instid1(VALU_DEP_1)
	v_div_scale_f64 v[12:13], null, v[14:15], v[14:15], -v[10:11]
	v_rcp_f64_e32 v[16:17], v[12:13]
	s_waitcnt_depctr 0xfff
	v_fma_f64 v[30:31], -v[12:13], v[16:17], 1.0
	s_delay_alu instid0(VALU_DEP_1) | instskip(NEXT) | instid1(VALU_DEP_1)
	v_fma_f64 v[16:17], v[16:17], v[30:31], v[16:17]
	v_fma_f64 v[30:31], -v[12:13], v[16:17], 1.0
	s_delay_alu instid0(VALU_DEP_1) | instskip(SKIP_1) | instid1(VALU_DEP_1)
	v_fma_f64 v[16:17], v[16:17], v[30:31], v[16:17]
	v_div_scale_f64 v[30:31], vcc_lo, -v[10:11], v[14:15], -v[10:11]
	v_mul_f64 v[46:47], v[30:31], v[16:17]
	s_delay_alu instid0(VALU_DEP_1) | instskip(NEXT) | instid1(VALU_DEP_1)
	v_fma_f64 v[12:13], -v[12:13], v[46:47], v[30:31]
	v_div_fmas_f64 v[12:13], v[12:13], v[16:17], v[46:47]
	s_delay_alu instid0(VALU_DEP_1) | instskip(SKIP_2) | instid1(VALU_DEP_2)
	v_div_fixup_f64 v[16:17], v[12:13], v[14:15], -v[10:11]
	v_mul_f64 v[12:13], v[32:33], v[32:33]
	v_mul_f64 v[10:11], v[52:53], v[52:53]
	v_mul_f64 v[30:31], v[12:13], 0.5
	v_fma_f64 v[54:55], v[12:13], s[6:7], s[4:5]
	s_delay_alu instid0(VALU_DEP_2) | instskip(NEXT) | instid1(VALU_DEP_2)
	v_add_f64 v[46:47], -v[30:31], 1.0
	v_fma_f64 v[54:55], v[12:13], v[54:55], s[10:11]
	s_delay_alu instid0(VALU_DEP_2) | instskip(NEXT) | instid1(VALU_DEP_2)
	v_add_f64 v[48:49], -v[46:47], 1.0
	v_fma_f64 v[54:55], v[12:13], v[54:55], s[12:13]
	s_delay_alu instid0(VALU_DEP_2) | instskip(NEXT) | instid1(VALU_DEP_2)
	v_add_f64 v[30:31], v[48:49], -v[30:31]
	v_fma_f64 v[54:55], v[12:13], v[54:55], s[14:15]
	v_mul_f64 v[48:49], v[12:13], v[12:13]
	s_delay_alu instid0(VALU_DEP_3) | instskip(NEXT) | instid1(VALU_DEP_3)
	v_fma_f64 v[30:31], v[32:33], -v[34:35], v[30:31]
	v_fma_f64 v[54:55], v[12:13], v[54:55], s[16:17]
	s_delay_alu instid0(VALU_DEP_1) | instskip(SKIP_2) | instid1(VALU_DEP_3)
	v_fma_f64 v[30:31], v[48:49], v[54:55], v[30:31]
	v_mul_f64 v[48:49], v[32:33], -v[12:13]
	v_mul_f64 v[54:55], v[34:35], 0.5
	v_add_f64 v[30:31], v[46:47], v[30:31]
	v_fma_f64 v[46:47], v[12:13], s[20:21], s[18:19]
	s_delay_alu instid0(VALU_DEP_1) | instskip(NEXT) | instid1(VALU_DEP_1)
	v_fma_f64 v[46:47], v[12:13], v[46:47], s[22:23]
	v_fma_f64 v[46:47], v[12:13], v[46:47], s[24:25]
	s_delay_alu instid0(VALU_DEP_1) | instskip(NEXT) | instid1(VALU_DEP_1)
	v_fma_f64 v[46:47], v[12:13], v[46:47], s[26:27]
	v_fma_f64 v[46:47], v[48:49], v[46:47], v[54:55]
	s_delay_alu instid0(VALU_DEP_1) | instskip(NEXT) | instid1(VALU_DEP_1)
	v_fma_f64 v[12:13], v[12:13], v[46:47], -v[34:35]
	v_fma_f64 v[12:13], v[48:49], s[28:29], v[12:13]
	s_delay_alu instid0(VALU_DEP_1) | instskip(SKIP_1) | instid1(VALU_DEP_1)
	v_add_f64 v[12:13], v[32:33], -v[12:13]
	v_and_b32_e32 v32, 1, v87
	v_cmp_eq_u32_e32 vcc_lo, 0, v32
	s_delay_alu instid0(VALU_DEP_3) | instskip(NEXT) | instid1(VALU_DEP_4)
	v_xor_b32_e32 v13, 0x80000000, v13
	v_cndmask_b32_e32 v12, v12, v30, vcc_lo
	v_lshlrev_b32_e32 v30, 30, v87
	s_delay_alu instid0(VALU_DEP_3) | instskip(NEXT) | instid1(VALU_DEP_3)
	v_cndmask_b32_e32 v13, v13, v31, vcc_lo
	v_cndmask_b32_e64 v12, 0, v12, s2
	s_delay_alu instid0(VALU_DEP_3) | instskip(NEXT) | instid1(VALU_DEP_1)
	v_and_b32_e32 v30, 0x80000000, v30
	v_xor_b32_e32 v13, v13, v30
	s_delay_alu instid0(VALU_DEP_1) | instskip(SKIP_2) | instid1(VALU_DEP_1)
	v_cndmask_b32_e64 v13, 0x7ff80000, v13, s2
	s_mov_b32 s2, 0x88e368f1
	s_mov_b32 s3, 0x3ee4f8b5
	v_mul_f64 v[10:11], v[10:11], v[12:13]
	v_mul_f64 v[12:13], v[36:37], v[36:37]
	s_delay_alu instid0(VALU_DEP_1) | instskip(SKIP_1) | instid1(VALU_DEP_2)
	v_mul_f64 v[30:31], v[12:13], 0.5
	v_fma_f64 v[46:47], v[12:13], s[6:7], s[4:5]
	v_add_f64 v[32:33], -v[30:31], 1.0
	s_delay_alu instid0(VALU_DEP_2) | instskip(NEXT) | instid1(VALU_DEP_2)
	v_fma_f64 v[46:47], v[12:13], v[46:47], s[10:11]
	v_add_f64 v[34:35], -v[32:33], 1.0
	s_delay_alu instid0(VALU_DEP_2) | instskip(NEXT) | instid1(VALU_DEP_2)
	v_fma_f64 v[46:47], v[12:13], v[46:47], s[12:13]
	v_add_f64 v[30:31], v[34:35], -v[30:31]
	s_delay_alu instid0(VALU_DEP_2) | instskip(SKIP_1) | instid1(VALU_DEP_3)
	v_fma_f64 v[46:47], v[12:13], v[46:47], s[14:15]
	v_mul_f64 v[34:35], v[12:13], v[12:13]
	v_fma_f64 v[30:31], v[36:37], -v[38:39], v[30:31]
	s_delay_alu instid0(VALU_DEP_3) | instskip(NEXT) | instid1(VALU_DEP_1)
	v_fma_f64 v[46:47], v[12:13], v[46:47], s[16:17]
	v_fma_f64 v[30:31], v[34:35], v[46:47], v[30:31]
	v_mul_f64 v[34:35], v[36:37], -v[12:13]
	v_mul_f64 v[46:47], v[38:39], 0.5
	s_delay_alu instid0(VALU_DEP_3) | instskip(SKIP_1) | instid1(VALU_DEP_1)
	v_add_f64 v[30:31], v[32:33], v[30:31]
	v_fma_f64 v[32:33], v[12:13], s[20:21], s[18:19]
	v_fma_f64 v[32:33], v[12:13], v[32:33], s[22:23]
	s_delay_alu instid0(VALU_DEP_1) | instskip(NEXT) | instid1(VALU_DEP_1)
	v_fma_f64 v[32:33], v[12:13], v[32:33], s[24:25]
	v_fma_f64 v[32:33], v[12:13], v[32:33], s[26:27]
	s_delay_alu instid0(VALU_DEP_1) | instskip(NEXT) | instid1(VALU_DEP_1)
	v_fma_f64 v[32:33], v[34:35], v[32:33], v[46:47]
	v_fma_f64 v[12:13], v[12:13], v[32:33], -v[38:39]
	v_and_b32_e32 v32, 1, v88
	s_delay_alu instid0(VALU_DEP_1) | instskip(NEXT) | instid1(VALU_DEP_3)
	v_cmp_eq_u32_e32 vcc_lo, 0, v32
	v_fma_f64 v[12:13], v[34:35], s[28:29], v[12:13]
	s_delay_alu instid0(VALU_DEP_1) | instskip(NEXT) | instid1(VALU_DEP_1)
	v_add_f64 v[12:13], v[36:37], -v[12:13]
	v_xor_b32_e32 v13, 0x80000000, v13
	s_delay_alu instid0(VALU_DEP_2) | instskip(NEXT) | instid1(VALU_DEP_2)
	v_cndmask_b32_e32 v12, v12, v30, vcc_lo
	v_dual_cndmask_b32 v13, v13, v31 :: v_dual_lshlrev_b32 v30, 30, v88
	s_delay_alu instid0(VALU_DEP_2) | instskip(NEXT) | instid1(VALU_DEP_2)
	v_cndmask_b32_e64 v12, 0, v12, s0
	v_and_b32_e32 v30, 0x80000000, v30
	s_delay_alu instid0(VALU_DEP_1) | instskip(NEXT) | instid1(VALU_DEP_1)
	v_xor_b32_e32 v13, v13, v30
	v_cndmask_b32_e64 v13, 0x7ff80000, v13, s0
	s_delay_alu instid0(VALU_DEP_1) | instskip(SKIP_1) | instid1(VALU_DEP_1)
	v_mul_f64 v[10:11], v[10:11], v[12:13]
	v_mul_f64 v[12:13], v[2:3], v[52:53]
	;; [unrolled: 1-line block ×4, first 2 shown]
	s_delay_alu instid0(VALU_DEP_1) | instskip(SKIP_1) | instid1(VALU_DEP_2)
	v_mul_f64 v[30:31], v[22:23], 0.5
	v_fma_f64 v[36:37], v[22:23], s[6:7], s[4:5]
	v_add_f64 v[32:33], -v[30:31], 1.0
	s_delay_alu instid0(VALU_DEP_2) | instskip(NEXT) | instid1(VALU_DEP_2)
	v_fma_f64 v[36:37], v[22:23], v[36:37], s[10:11]
	v_add_f64 v[34:35], -v[32:33], 1.0
	s_delay_alu instid0(VALU_DEP_2) | instskip(NEXT) | instid1(VALU_DEP_2)
	v_fma_f64 v[36:37], v[22:23], v[36:37], s[12:13]
	v_add_f64 v[30:31], v[34:35], -v[30:31]
	s_delay_alu instid0(VALU_DEP_2) | instskip(SKIP_1) | instid1(VALU_DEP_3)
	v_fma_f64 v[36:37], v[22:23], v[36:37], s[14:15]
	v_mul_f64 v[34:35], v[22:23], v[22:23]
	v_fma_f64 v[30:31], v[40:41], -v[42:43], v[30:31]
	s_delay_alu instid0(VALU_DEP_3) | instskip(NEXT) | instid1(VALU_DEP_1)
	v_fma_f64 v[36:37], v[22:23], v[36:37], s[16:17]
	v_fma_f64 v[30:31], v[34:35], v[36:37], v[30:31]
	v_mul_f64 v[34:35], v[40:41], -v[22:23]
	v_mul_f64 v[36:37], v[42:43], 0.5
	s_delay_alu instid0(VALU_DEP_3) | instskip(SKIP_1) | instid1(VALU_DEP_1)
	v_add_f64 v[30:31], v[32:33], v[30:31]
	v_fma_f64 v[32:33], v[22:23], s[20:21], s[18:19]
	v_fma_f64 v[32:33], v[22:23], v[32:33], s[22:23]
	s_delay_alu instid0(VALU_DEP_1) | instskip(NEXT) | instid1(VALU_DEP_1)
	v_fma_f64 v[32:33], v[22:23], v[32:33], s[24:25]
	v_fma_f64 v[32:33], v[22:23], v[32:33], s[26:27]
	s_delay_alu instid0(VALU_DEP_1) | instskip(NEXT) | instid1(VALU_DEP_1)
	v_fma_f64 v[32:33], v[34:35], v[32:33], v[36:37]
	v_fma_f64 v[22:23], v[22:23], v[32:33], -v[42:43]
	v_and_b32_e32 v32, 1, v89
	s_delay_alu instid0(VALU_DEP_1) | instskip(NEXT) | instid1(VALU_DEP_3)
	v_cmp_eq_u32_e32 vcc_lo, 0, v32
	v_fma_f64 v[22:23], v[34:35], s[28:29], v[22:23]
	s_delay_alu instid0(VALU_DEP_1) | instskip(NEXT) | instid1(VALU_DEP_1)
	v_add_f64 v[22:23], v[40:41], -v[22:23]
	v_cndmask_b32_e32 v22, v30, v22, vcc_lo
	s_delay_alu instid0(VALU_DEP_2) | instskip(NEXT) | instid1(VALU_DEP_2)
	v_dual_cndmask_b32 v23, v31, v23 :: v_dual_lshlrev_b32 v30, 30, v89
	v_cndmask_b32_e64 v22, 0, v22, s0
	s_delay_alu instid0(VALU_DEP_2) | instskip(NEXT) | instid1(VALU_DEP_1)
	v_xor_b32_e32 v30, v30, v5
	v_and_b32_e32 v30, 0x80000000, v30
	s_delay_alu instid0(VALU_DEP_1) | instskip(NEXT) | instid1(VALU_DEP_1)
	v_xor_b32_e32 v23, v23, v30
	v_cndmask_b32_e64 v23, 0x7ff80000, v23, s0
	s_delay_alu instid0(VALU_DEP_1) | instskip(NEXT) | instid1(VALU_DEP_1)
	v_fma_f64 v[10:11], v[12:13], v[22:23], -v[10:11]
	v_div_scale_f64 v[12:13], null, v[14:15], v[14:15], -v[10:11]
	s_delay_alu instid0(VALU_DEP_1) | instskip(SKIP_2) | instid1(VALU_DEP_1)
	v_rcp_f64_e32 v[22:23], v[12:13]
	s_waitcnt_depctr 0xfff
	v_fma_f64 v[30:31], -v[12:13], v[22:23], 1.0
	v_fma_f64 v[22:23], v[22:23], v[30:31], v[22:23]
	s_delay_alu instid0(VALU_DEP_1) | instskip(NEXT) | instid1(VALU_DEP_1)
	v_fma_f64 v[30:31], -v[12:13], v[22:23], 1.0
	v_fma_f64 v[22:23], v[22:23], v[30:31], v[22:23]
	v_div_scale_f64 v[30:31], vcc_lo, -v[10:11], v[14:15], -v[10:11]
	s_delay_alu instid0(VALU_DEP_1) | instskip(NEXT) | instid1(VALU_DEP_1)
	v_mul_f64 v[32:33], v[30:31], v[22:23]
	v_fma_f64 v[12:13], -v[12:13], v[32:33], v[30:31]
	s_delay_alu instid0(VALU_DEP_1) | instskip(NEXT) | instid1(VALU_DEP_1)
	v_div_fmas_f64 v[12:13], v[12:13], v[22:23], v[32:33]
	v_div_fixup_f64 v[22:23], v[12:13], v[14:15], -v[10:11]
	v_add_f64 v[12:13], -v[6:7], 1.0
	s_delay_alu instid0(VALU_DEP_1) | instskip(SKIP_3) | instid1(VALU_DEP_1)
	v_cmp_gt_f64_e32 vcc_lo, 0x10000000, v[12:13]
	v_cndmask_b32_e64 v10, 0, 1, vcc_lo
	s_and_b32 s1, vcc_lo, exec_lo
	s_cselect_b32 s1, 0xffffff80, 0
	v_lshlrev_b32_e32 v10, 8, v10
	s_delay_alu instid0(VALU_DEP_1) | instskip(NEXT) | instid1(VALU_DEP_1)
	v_ldexp_f64 v[10:11], v[12:13], v10
	v_rsq_f64_e32 v[30:31], v[10:11]
	v_cmp_class_f64_e64 vcc_lo, v[10:11], 0x260
	s_waitcnt_depctr 0xfff
	v_mul_f64 v[32:33], v[10:11], v[30:31]
	v_mul_f64 v[30:31], v[30:31], 0.5
	s_delay_alu instid0(VALU_DEP_1) | instskip(NEXT) | instid1(VALU_DEP_1)
	v_fma_f64 v[34:35], -v[30:31], v[32:33], 0.5
	v_fma_f64 v[32:33], v[32:33], v[34:35], v[32:33]
	v_fma_f64 v[30:31], v[30:31], v[34:35], v[30:31]
	s_delay_alu instid0(VALU_DEP_2) | instskip(NEXT) | instid1(VALU_DEP_1)
	v_fma_f64 v[36:37], -v[32:33], v[32:33], v[10:11]
	v_fma_f64 v[32:33], v[36:37], v[30:31], v[32:33]
	s_delay_alu instid0(VALU_DEP_1) | instskip(NEXT) | instid1(VALU_DEP_1)
	v_fma_f64 v[34:35], -v[32:33], v[32:33], v[10:11]
	v_fma_f64 v[30:31], v[34:35], v[30:31], v[32:33]
	v_frexp_exp_i32_f64_e32 v32, v[12:13]
	s_delay_alu instid0(VALU_DEP_2) | instskip(NEXT) | instid1(VALU_DEP_1)
	v_ldexp_f64 v[30:31], v[30:31], s1
	v_dual_cndmask_b32 v11, v31, v11 :: v_dual_cndmask_b32 v10, v30, v10
	v_cmp_eq_f64_e32 vcc_lo, 1.0, v[12:13]
	v_frexp_mant_f64_e64 v[30:31], |v[12:13]|
	s_delay_alu instid0(VALU_DEP_3) | instskip(SKIP_1) | instid1(VALU_DEP_2)
	v_add_f64 v[10:11], v[10:11], 1.0
	s_and_b32 s1, vcc_lo, exec_lo
	v_cmp_gt_f64_e32 vcc_lo, s[34:35], v[30:31]
	s_cselect_b32 s38, 0, 0x55555555
	s_delay_alu instid0(VALU_DEP_2) | instskip(SKIP_1) | instid1(SALU_CYCLE_1)
	v_add_f64 v[10:11], v[10:11], s[2:3]
	s_mov_b32 s3, 0x3ff00000
	s_cselect_b32 s39, s3, 0x3fd55555
	s_and_b32 s1, vcc_lo, exec_lo
	s_cselect_b32 s31, 2.0, 0x3ff00000
	v_subrev_co_ci_u32_e32 v46, vcc_lo, 0, v32, vcc_lo
	v_mul_f64 v[30:31], v[30:31], s[30:31]
	s_delay_alu instid0(VALU_DEP_1) | instskip(SKIP_1) | instid1(VALU_DEP_2)
	v_add_f64 v[34:35], v[30:31], 1.0
	v_add_f64 v[32:33], v[30:31], -1.0
	v_add_f64 v[36:37], v[34:35], -1.0
	s_delay_alu instid0(VALU_DEP_1) | instskip(SKIP_3) | instid1(VALU_DEP_1)
	v_add_f64 v[30:31], v[30:31], -v[36:37]
	v_rcp_f64_e32 v[36:37], v[34:35]
	s_waitcnt_depctr 0xfff
	v_fma_f64 v[38:39], -v[34:35], v[36:37], 1.0
	v_fma_f64 v[36:37], v[38:39], v[36:37], v[36:37]
	s_delay_alu instid0(VALU_DEP_1) | instskip(NEXT) | instid1(VALU_DEP_1)
	v_fma_f64 v[38:39], -v[34:35], v[36:37], 1.0
	v_fma_f64 v[36:37], v[38:39], v[36:37], v[36:37]
	s_delay_alu instid0(VALU_DEP_1) | instskip(NEXT) | instid1(VALU_DEP_1)
	v_mul_f64 v[38:39], v[32:33], v[36:37]
	v_mul_f64 v[40:41], v[34:35], v[38:39]
	s_delay_alu instid0(VALU_DEP_1) | instskip(NEXT) | instid1(VALU_DEP_1)
	v_fma_f64 v[34:35], v[38:39], v[34:35], -v[40:41]
	v_fma_f64 v[30:31], v[38:39], v[30:31], v[34:35]
	s_delay_alu instid0(VALU_DEP_1) | instskip(NEXT) | instid1(VALU_DEP_1)
	v_add_f64 v[34:35], v[40:41], v[30:31]
	v_add_f64 v[42:43], v[32:33], -v[34:35]
	v_add_f64 v[40:41], v[34:35], -v[40:41]
	s_delay_alu instid0(VALU_DEP_2) | instskip(NEXT) | instid1(VALU_DEP_2)
	v_add_f64 v[32:33], v[32:33], -v[42:43]
	v_add_f64 v[30:31], v[40:41], -v[30:31]
	v_cvt_f64_i32_e32 v[40:41], v46
	s_delay_alu instid0(VALU_DEP_3) | instskip(NEXT) | instid1(VALU_DEP_1)
	v_add_f64 v[32:33], v[32:33], -v[34:35]
	v_add_f64 v[30:31], v[30:31], v[32:33]
	s_delay_alu instid0(VALU_DEP_1) | instskip(NEXT) | instid1(VALU_DEP_4)
	v_add_f64 v[30:31], v[42:43], v[30:31]
	v_mul_f64 v[42:43], v[40:41], s[58:59]
	s_delay_alu instid0(VALU_DEP_2) | instskip(NEXT) | instid1(VALU_DEP_2)
	v_mul_f64 v[30:31], v[36:37], v[30:31]
	v_fma_f64 v[46:47], v[40:41], s[58:59], -v[42:43]
	s_delay_alu instid0(VALU_DEP_2) | instskip(NEXT) | instid1(VALU_DEP_2)
	v_add_f64 v[32:33], v[38:39], v[30:31]
	v_fma_f64 v[40:41], v[40:41], s[60:61], v[46:47]
	s_delay_alu instid0(VALU_DEP_2) | instskip(NEXT) | instid1(VALU_DEP_2)
	v_add_f64 v[34:35], v[32:33], -v[38:39]
	v_add_f64 v[46:47], v[42:43], v[40:41]
	s_delay_alu instid0(VALU_DEP_2) | instskip(SKIP_1) | instid1(VALU_DEP_3)
	v_add_f64 v[30:31], v[30:31], -v[34:35]
	v_mul_f64 v[34:35], v[32:33], v[32:33]
	v_add_f64 v[42:43], v[46:47], -v[42:43]
	s_delay_alu instid0(VALU_DEP_3) | instskip(NEXT) | instid1(VALU_DEP_3)
	v_add_f64 v[38:39], v[30:31], v[30:31]
	v_fma_f64 v[36:37], v[32:33], v[32:33], -v[34:35]
	v_ldexp_f64 v[48:49], v[30:31], 1
	s_delay_alu instid0(VALU_DEP_4) | instskip(SKIP_1) | instid1(VALU_DEP_4)
	v_add_f64 v[40:41], v[40:41], -v[42:43]
	v_ldexp_f64 v[42:43], v[32:33], 1
	v_fma_f64 v[36:37], v[32:33], v[38:39], v[36:37]
	s_delay_alu instid0(VALU_DEP_1) | instskip(NEXT) | instid1(VALU_DEP_1)
	v_add_f64 v[38:39], v[34:35], v[36:37]
	v_add_f64 v[34:35], v[38:39], -v[34:35]
	v_mul_f64 v[52:53], v[32:33], v[38:39]
	s_delay_alu instid0(VALU_DEP_2) | instskip(SKIP_1) | instid1(VALU_DEP_3)
	v_add_f64 v[34:35], v[36:37], -v[34:35]
	v_fma_f64 v[36:37], v[38:39], s[42:43], s[40:41]
	v_fma_f64 v[54:55], v[38:39], v[32:33], -v[52:53]
	s_delay_alu instid0(VALU_DEP_2) | instskip(NEXT) | instid1(VALU_DEP_2)
	v_fma_f64 v[36:37], v[38:39], v[36:37], s[44:45]
	v_fma_f64 v[30:31], v[38:39], v[30:31], v[54:55]
	s_delay_alu instid0(VALU_DEP_2) | instskip(NEXT) | instid1(VALU_DEP_2)
	v_fma_f64 v[36:37], v[38:39], v[36:37], s[46:47]
	v_fma_f64 v[30:31], v[34:35], v[32:33], v[30:31]
	s_delay_alu instid0(VALU_DEP_2) | instskip(NEXT) | instid1(VALU_DEP_2)
	v_fma_f64 v[36:37], v[38:39], v[36:37], s[48:49]
	v_add_f64 v[32:33], v[52:53], v[30:31]
	s_delay_alu instid0(VALU_DEP_2) | instskip(NEXT) | instid1(VALU_DEP_2)
	v_fma_f64 v[36:37], v[38:39], v[36:37], s[50:51]
	v_add_f64 v[52:53], v[32:33], -v[52:53]
	s_delay_alu instid0(VALU_DEP_2) | instskip(NEXT) | instid1(VALU_DEP_2)
	v_fma_f64 v[36:37], v[38:39], v[36:37], s[52:53]
	v_add_f64 v[30:31], v[30:31], -v[52:53]
	s_delay_alu instid0(VALU_DEP_2) | instskip(NEXT) | instid1(VALU_DEP_1)
	v_fma_f64 v[36:37], v[38:39], v[36:37], s[54:55]
	v_fma_f64 v[36:37], v[38:39], v[36:37], s[56:57]
	s_delay_alu instid0(VALU_DEP_1) | instskip(NEXT) | instid1(VALU_DEP_1)
	v_mul_f64 v[52:53], v[38:39], v[36:37]
	v_fma_f64 v[38:39], v[38:39], v[36:37], -v[52:53]
	s_delay_alu instid0(VALU_DEP_1) | instskip(NEXT) | instid1(VALU_DEP_1)
	v_fma_f64 v[34:35], v[34:35], v[36:37], v[38:39]
	v_add_f64 v[36:37], v[52:53], v[34:35]
	s_delay_alu instid0(VALU_DEP_1) | instskip(NEXT) | instid1(VALU_DEP_1)
	v_add_f64 v[38:39], v[36:37], -v[52:53]
	v_add_f64 v[34:35], v[34:35], -v[38:39]
	v_add_f64 v[38:39], v[36:37], s[34:35]
	s_delay_alu instid0(VALU_DEP_2) | instskip(NEXT) | instid1(VALU_DEP_2)
	v_add_f64 v[34:35], v[34:35], s[64:65]
	v_add_f64 v[52:53], v[38:39], s[62:63]
	s_delay_alu instid0(VALU_DEP_1) | instskip(NEXT) | instid1(VALU_DEP_1)
	v_add_f64 v[36:37], v[36:37], -v[52:53]
	v_add_f64 v[34:35], v[34:35], v[36:37]
	s_delay_alu instid0(VALU_DEP_1) | instskip(NEXT) | instid1(VALU_DEP_1)
	v_add_f64 v[36:37], v[38:39], v[34:35]
	v_add_f64 v[38:39], v[38:39], -v[36:37]
	s_delay_alu instid0(VALU_DEP_1) | instskip(SKIP_1) | instid1(VALU_DEP_1)
	v_add_f64 v[34:35], v[34:35], v[38:39]
	v_mul_f64 v[38:39], v[32:33], v[36:37]
	v_fma_f64 v[52:53], v[32:33], v[36:37], -v[38:39]
	s_delay_alu instid0(VALU_DEP_1) | instskip(NEXT) | instid1(VALU_DEP_1)
	v_fma_f64 v[32:33], v[32:33], v[34:35], v[52:53]
	v_fma_f64 v[30:31], v[30:31], v[36:37], v[32:33]
	s_delay_alu instid0(VALU_DEP_1) | instskip(NEXT) | instid1(VALU_DEP_1)
	v_add_f64 v[32:33], v[38:39], v[30:31]
	v_add_f64 v[34:35], v[32:33], -v[38:39]
	s_delay_alu instid0(VALU_DEP_1) | instskip(SKIP_1) | instid1(VALU_DEP_2)
	v_add_f64 v[30:31], v[30:31], -v[34:35]
	v_add_f64 v[34:35], v[42:43], v[32:33]
	v_add_f64 v[30:31], v[48:49], v[30:31]
	s_delay_alu instid0(VALU_DEP_2) | instskip(NEXT) | instid1(VALU_DEP_1)
	v_add_f64 v[36:37], v[34:35], -v[42:43]
	v_add_f64 v[32:33], v[32:33], -v[36:37]
	s_delay_alu instid0(VALU_DEP_1) | instskip(NEXT) | instid1(VALU_DEP_1)
	v_add_f64 v[30:31], v[30:31], v[32:33]
	v_add_f64 v[32:33], v[34:35], v[30:31]
	s_delay_alu instid0(VALU_DEP_1) | instskip(NEXT) | instid1(VALU_DEP_1)
	v_add_f64 v[34:35], v[32:33], -v[34:35]
	v_add_f64 v[30:31], v[30:31], -v[34:35]
	v_add_f64 v[34:35], v[46:47], v[32:33]
	s_delay_alu instid0(VALU_DEP_1) | instskip(NEXT) | instid1(VALU_DEP_1)
	v_add_f64 v[36:37], v[34:35], -v[46:47]
	v_add_f64 v[38:39], v[34:35], -v[36:37]
	;; [unrolled: 1-line block ×3, first 2 shown]
	v_add_f64 v[36:37], v[40:41], v[30:31]
	s_delay_alu instid0(VALU_DEP_3) | instskip(NEXT) | instid1(VALU_DEP_1)
	v_add_f64 v[38:39], v[46:47], -v[38:39]
	v_add_f64 v[32:33], v[32:33], v[38:39]
	s_delay_alu instid0(VALU_DEP_3) | instskip(NEXT) | instid1(VALU_DEP_2)
	v_add_f64 v[38:39], v[36:37], -v[40:41]
	v_add_f64 v[32:33], v[36:37], v[32:33]
	s_delay_alu instid0(VALU_DEP_2) | instskip(SKIP_1) | instid1(VALU_DEP_3)
	v_add_f64 v[42:43], v[36:37], -v[38:39]
	v_add_f64 v[30:31], v[30:31], -v[38:39]
	v_add_f64 v[36:37], v[34:35], v[32:33]
	s_delay_alu instid0(VALU_DEP_3) | instskip(NEXT) | instid1(VALU_DEP_2)
	v_add_f64 v[40:41], v[40:41], -v[42:43]
	v_add_f64 v[34:35], v[36:37], -v[34:35]
	s_delay_alu instid0(VALU_DEP_2) | instskip(NEXT) | instid1(VALU_DEP_2)
	v_add_f64 v[30:31], v[30:31], v[40:41]
	v_add_f64 v[32:33], v[32:33], -v[34:35]
	s_delay_alu instid0(VALU_DEP_1) | instskip(NEXT) | instid1(VALU_DEP_1)
	v_add_f64 v[30:31], v[30:31], v[32:33]
	v_add_f64 v[32:33], v[36:37], v[30:31]
	s_delay_alu instid0(VALU_DEP_1) | instskip(NEXT) | instid1(VALU_DEP_1)
	v_add_f64 v[34:35], v[32:33], -v[36:37]
	v_add_f64 v[30:31], v[30:31], -v[34:35]
	v_mul_f64 v[34:35], s[38:39], v[32:33]
	s_delay_alu instid0(VALU_DEP_1) | instskip(SKIP_1) | instid1(VALU_DEP_2)
	v_fma_f64 v[32:33], s[38:39], v[32:33], -v[34:35]
	v_cmp_class_f64_e64 vcc_lo, v[34:35], 0x204
	v_fma_f64 v[30:31], s[38:39], v[30:31], v[32:33]
	s_delay_alu instid0(VALU_DEP_1) | instskip(NEXT) | instid1(VALU_DEP_1)
	v_add_f64 v[32:33], v[34:35], v[30:31]
	v_add_f64 v[36:37], v[32:33], -v[34:35]
	v_dual_cndmask_b32 v33, v33, v35 :: v_dual_cndmask_b32 v32, v32, v34
	s_delay_alu instid0(VALU_DEP_1) | instskip(SKIP_1) | instid1(VALU_DEP_4)
	v_mul_f64 v[34:35], v[32:33], s[66:67]
	v_cmp_neq_f64_e64 vcc_lo, 0x7ff00000, |v[32:33]|
	v_add_f64 v[30:31], v[30:31], -v[36:37]
	s_delay_alu instid0(VALU_DEP_3) | instskip(NEXT) | instid1(VALU_DEP_2)
	v_rndne_f64_e32 v[34:35], v[34:35]
	v_dual_cndmask_b32 v31, 0, v31 :: v_dual_cndmask_b32 v30, 0, v30
	v_cmp_lt_f64_e32 vcc_lo, 0x40900000, v[32:33]
	s_delay_alu instid0(VALU_DEP_3) | instskip(SKIP_2) | instid1(VALU_DEP_2)
	v_fma_f64 v[36:37], v[34:35], s[68:69], v[32:33]
	s_and_b32 s1, vcc_lo, exec_lo
	v_cmp_ngt_f64_e64 s1, 0xc090cc00, v[32:33]
	v_fma_f64 v[36:37], v[34:35], s[82:83], v[36:37]
	v_cvt_i32_f64_e32 v34, v[34:35]
	s_delay_alu instid0(VALU_DEP_2) | instskip(NEXT) | instid1(VALU_DEP_1)
	v_fma_f64 v[38:39], v[36:37], s[72:73], s[70:71]
	v_fma_f64 v[38:39], v[36:37], v[38:39], s[74:75]
	s_delay_alu instid0(VALU_DEP_1) | instskip(NEXT) | instid1(VALU_DEP_1)
	v_fma_f64 v[38:39], v[36:37], v[38:39], s[76:77]
	v_fma_f64 v[38:39], v[36:37], v[38:39], s[78:79]
	s_delay_alu instid0(VALU_DEP_1) | instskip(NEXT) | instid1(VALU_DEP_1)
	;; [unrolled: 3-line block ×4, first 2 shown]
	v_fma_f64 v[38:39], v[36:37], v[38:39], s[90:91]
	v_fma_f64 v[38:39], v[36:37], v[38:39], 1.0
	s_delay_alu instid0(VALU_DEP_1) | instskip(NEXT) | instid1(VALU_DEP_1)
	v_fma_f64 v[36:37], v[36:37], v[38:39], 1.0
	v_ldexp_f64 v[34:35], v[36:37], v34
	s_delay_alu instid0(VALU_DEP_1) | instskip(NEXT) | instid1(VALU_DEP_2)
	v_readfirstlane_b32 s2, v34
	v_cndmask_b32_e64 v34, v35, 0x7ff00000, vcc_lo
	v_and_b32_e32 v35, 0x7fffffff, v35
	s_delay_alu instid0(VALU_DEP_3) | instskip(NEXT) | instid1(VALU_DEP_2)
	s_cselect_b32 s31, 0, s2
	v_cndmask_b32_e64 v33, 0, v34, s1
	v_mov_b32_e32 v34, s2
	s_and_b32 s33, s1, exec_lo
	s_cselect_b32 s31, s31, 0
	s_delay_alu instid0(SALU_CYCLE_1) | instskip(NEXT) | instid1(VALU_DEP_2)
	v_mov_b32_e32 v32, s31
	v_cmp_eq_f64_e64 s2, 0x7ff00000, v[34:35]
	s_delay_alu instid0(VALU_DEP_2) | instskip(NEXT) | instid1(VALU_DEP_2)
	v_fma_f64 v[30:31], v[32:33], v[30:31], v[32:33]
	s_or_b32 s2, vcc_lo, s2
	s_delay_alu instid0(SALU_CYCLE_1) | instskip(NEXT) | instid1(VALU_DEP_1)
	s_and_b32 vcc_lo, s1, s2
	v_readfirstlane_b32 s1, v30
	s_delay_alu instid0(VALU_DEP_2) | instskip(SKIP_4) | instid1(VALU_DEP_2)
	v_cndmask_b32_e32 v34, v31, v33, vcc_lo
	v_trunc_f64_e32 v[30:31], s[38:39]
	s_and_b32 s2, vcc_lo, exec_lo
	v_cmp_gt_f64_e64 s2, 0, v[12:13]
	s_cselect_b32 s31, s31, s1
	v_cmp_eq_f64_e32 vcc_lo, s[38:39], v[30:31]
	v_mul_f64 v[30:31], s[38:39], 0.5
	s_delay_alu instid0(VALU_DEP_1) | instskip(NEXT) | instid1(VALU_DEP_1)
	v_trunc_f64_e32 v[32:33], v[30:31]
	v_cmp_neq_f64_e64 s1, v[32:33], v[30:31]
	s_delay_alu instid0(VALU_DEP_1)
	s_and_b32 s1, vcc_lo, s1
	s_and_b32 s33, vcc_lo, exec_lo
	v_cndmask_b32_e64 v30, 0x3ff00000, v13, s1
	s_cselect_b32 s33, s31, 0
	s_and_b32 s38, s2, exec_lo
	s_cselect_b32 s31, s33, s31
	s_delay_alu instid0(VALU_DEP_1) | instskip(NEXT) | instid1(VALU_DEP_1)
	v_bfi_b32 v30, 0x7fffffff, v34, v30
	v_cndmask_b32_e32 v31, 0x7ff80000, v30, vcc_lo
	v_cmp_eq_f64_e32 vcc_lo, 0, v[12:13]
	s_delay_alu instid0(VALU_DEP_2) | instskip(SKIP_2) | instid1(VALU_DEP_2)
	v_cndmask_b32_e64 v30, v30, v31, s2
	v_cmp_class_f64_e64 s2, v[12:13], 0x204
	v_cndmask_b32_e64 v31, 0, v13, s1
	s_or_b32 s2, vcc_lo, s2
	s_and_b32 s33, vcc_lo, exec_lo
	v_cmp_o_f64_e32 vcc_lo, v[12:13], v[12:13]
	s_cselect_b32 s33, 0, 0x7ff00000
	s_and_b32 s1, s2, exec_lo
	v_bfi_b32 v31, 0x7fffffff, s33, v31
	s_cselect_b32 s1, 0, s31
	s_delay_alu instid0(VALU_DEP_1) | instskip(NEXT) | instid1(VALU_DEP_1)
	v_cndmask_b32_e64 v30, v30, v31, s2
	v_cndmask_b32_e32 v13, 0x7ff80000, v30, vcc_lo
	v_add_f64 v[30:31], s[8:9], 1.0
	s_and_b32 s2, vcc_lo, exec_lo
	s_cselect_b32 s1, s1, 0
	s_delay_alu instid0(SALU_CYCLE_1) | instskip(NEXT) | instid1(VALU_DEP_2)
	v_mov_b32_e32 v12, s1
	v_cmp_eq_f64_e32 vcc_lo, 1.0, v[30:31]
	v_frexp_mant_f64_e64 v[32:33], |v[30:31]|
	v_frexp_exp_i32_f64_e32 v34, v[30:31]
	s_and_b32 s1, vcc_lo, exec_lo
	s_delay_alu instid0(VALU_DEP_2) | instskip(SKIP_4) | instid1(VALU_DEP_2)
	v_cmp_gt_f64_e32 vcc_lo, s[34:35], v[32:33]
	s_cselect_b32 s39, s3, 0x3fd55555
	s_cselect_b32 s38, 0, 0x55555555
	s_and_b32 s1, vcc_lo, exec_lo
	s_cselect_b32 s31, 2.0, 0x3ff00000
	v_subrev_co_ci_u32_e32 v48, vcc_lo, 0, v34, vcc_lo
	v_mul_f64 v[32:33], v[32:33], s[30:31]
	s_delay_alu instid0(VALU_DEP_1) | instskip(SKIP_1) | instid1(VALU_DEP_2)
	v_add_f64 v[36:37], v[32:33], 1.0
	v_add_f64 v[34:35], v[32:33], -1.0
	v_add_f64 v[38:39], v[36:37], -1.0
	s_delay_alu instid0(VALU_DEP_1) | instskip(SKIP_3) | instid1(VALU_DEP_1)
	v_add_f64 v[32:33], v[32:33], -v[38:39]
	v_rcp_f64_e32 v[38:39], v[36:37]
	s_waitcnt_depctr 0xfff
	v_fma_f64 v[40:41], -v[36:37], v[38:39], 1.0
	v_fma_f64 v[38:39], v[40:41], v[38:39], v[38:39]
	s_delay_alu instid0(VALU_DEP_1) | instskip(NEXT) | instid1(VALU_DEP_1)
	v_fma_f64 v[40:41], -v[36:37], v[38:39], 1.0
	v_fma_f64 v[38:39], v[40:41], v[38:39], v[38:39]
	s_delay_alu instid0(VALU_DEP_1) | instskip(NEXT) | instid1(VALU_DEP_1)
	v_mul_f64 v[40:41], v[34:35], v[38:39]
	v_mul_f64 v[42:43], v[36:37], v[40:41]
	s_delay_alu instid0(VALU_DEP_1) | instskip(NEXT) | instid1(VALU_DEP_1)
	v_fma_f64 v[36:37], v[40:41], v[36:37], -v[42:43]
	v_fma_f64 v[32:33], v[40:41], v[32:33], v[36:37]
	s_delay_alu instid0(VALU_DEP_1) | instskip(NEXT) | instid1(VALU_DEP_1)
	v_add_f64 v[36:37], v[42:43], v[32:33]
	v_add_f64 v[46:47], v[34:35], -v[36:37]
	v_add_f64 v[42:43], v[36:37], -v[42:43]
	s_delay_alu instid0(VALU_DEP_2) | instskip(NEXT) | instid1(VALU_DEP_2)
	v_add_f64 v[34:35], v[34:35], -v[46:47]
	v_add_f64 v[32:33], v[42:43], -v[32:33]
	v_cvt_f64_i32_e32 v[42:43], v48
	s_delay_alu instid0(VALU_DEP_3) | instskip(NEXT) | instid1(VALU_DEP_1)
	v_add_f64 v[34:35], v[34:35], -v[36:37]
	v_add_f64 v[32:33], v[32:33], v[34:35]
	s_delay_alu instid0(VALU_DEP_1) | instskip(NEXT) | instid1(VALU_DEP_4)
	v_add_f64 v[32:33], v[46:47], v[32:33]
	v_mul_f64 v[46:47], v[42:43], s[58:59]
	s_delay_alu instid0(VALU_DEP_2) | instskip(NEXT) | instid1(VALU_DEP_2)
	v_mul_f64 v[32:33], v[38:39], v[32:33]
	v_fma_f64 v[48:49], v[42:43], s[58:59], -v[46:47]
	s_delay_alu instid0(VALU_DEP_2) | instskip(NEXT) | instid1(VALU_DEP_2)
	v_add_f64 v[34:35], v[40:41], v[32:33]
	v_fma_f64 v[42:43], v[42:43], s[60:61], v[48:49]
	s_delay_alu instid0(VALU_DEP_2) | instskip(NEXT) | instid1(VALU_DEP_2)
	v_add_f64 v[36:37], v[34:35], -v[40:41]
	v_add_f64 v[48:49], v[46:47], v[42:43]
	s_delay_alu instid0(VALU_DEP_2) | instskip(SKIP_1) | instid1(VALU_DEP_3)
	v_add_f64 v[32:33], v[32:33], -v[36:37]
	v_mul_f64 v[36:37], v[34:35], v[34:35]
	v_add_f64 v[46:47], v[48:49], -v[46:47]
	s_delay_alu instid0(VALU_DEP_3) | instskip(NEXT) | instid1(VALU_DEP_3)
	v_add_f64 v[40:41], v[32:33], v[32:33]
	v_fma_f64 v[38:39], v[34:35], v[34:35], -v[36:37]
	v_ldexp_f64 v[52:53], v[32:33], 1
	s_delay_alu instid0(VALU_DEP_4) | instskip(SKIP_1) | instid1(VALU_DEP_4)
	v_add_f64 v[42:43], v[42:43], -v[46:47]
	v_ldexp_f64 v[46:47], v[34:35], 1
	v_fma_f64 v[38:39], v[34:35], v[40:41], v[38:39]
	s_delay_alu instid0(VALU_DEP_1) | instskip(NEXT) | instid1(VALU_DEP_1)
	v_add_f64 v[40:41], v[36:37], v[38:39]
	v_add_f64 v[36:37], v[40:41], -v[36:37]
	v_mul_f64 v[54:55], v[34:35], v[40:41]
	s_delay_alu instid0(VALU_DEP_2) | instskip(SKIP_1) | instid1(VALU_DEP_3)
	v_add_f64 v[36:37], v[38:39], -v[36:37]
	v_fma_f64 v[38:39], v[40:41], s[42:43], s[40:41]
	v_fma_f64 v[56:57], v[40:41], v[34:35], -v[54:55]
	s_delay_alu instid0(VALU_DEP_2) | instskip(NEXT) | instid1(VALU_DEP_2)
	v_fma_f64 v[38:39], v[40:41], v[38:39], s[44:45]
	v_fma_f64 v[32:33], v[40:41], v[32:33], v[56:57]
	s_delay_alu instid0(VALU_DEP_2) | instskip(NEXT) | instid1(VALU_DEP_2)
	v_fma_f64 v[38:39], v[40:41], v[38:39], s[46:47]
	v_fma_f64 v[32:33], v[36:37], v[34:35], v[32:33]
	s_delay_alu instid0(VALU_DEP_2) | instskip(NEXT) | instid1(VALU_DEP_2)
	v_fma_f64 v[38:39], v[40:41], v[38:39], s[48:49]
	v_add_f64 v[34:35], v[54:55], v[32:33]
	s_delay_alu instid0(VALU_DEP_2) | instskip(NEXT) | instid1(VALU_DEP_2)
	v_fma_f64 v[38:39], v[40:41], v[38:39], s[50:51]
	v_add_f64 v[54:55], v[34:35], -v[54:55]
	s_delay_alu instid0(VALU_DEP_2) | instskip(NEXT) | instid1(VALU_DEP_2)
	v_fma_f64 v[38:39], v[40:41], v[38:39], s[52:53]
	v_add_f64 v[32:33], v[32:33], -v[54:55]
	s_delay_alu instid0(VALU_DEP_2) | instskip(NEXT) | instid1(VALU_DEP_1)
	v_fma_f64 v[38:39], v[40:41], v[38:39], s[54:55]
	v_fma_f64 v[38:39], v[40:41], v[38:39], s[56:57]
	s_delay_alu instid0(VALU_DEP_1) | instskip(NEXT) | instid1(VALU_DEP_1)
	v_mul_f64 v[54:55], v[40:41], v[38:39]
	v_fma_f64 v[40:41], v[40:41], v[38:39], -v[54:55]
	s_delay_alu instid0(VALU_DEP_1) | instskip(NEXT) | instid1(VALU_DEP_1)
	v_fma_f64 v[36:37], v[36:37], v[38:39], v[40:41]
	v_add_f64 v[38:39], v[54:55], v[36:37]
	s_delay_alu instid0(VALU_DEP_1) | instskip(NEXT) | instid1(VALU_DEP_1)
	v_add_f64 v[40:41], v[38:39], -v[54:55]
	v_add_f64 v[36:37], v[36:37], -v[40:41]
	v_add_f64 v[40:41], v[38:39], s[34:35]
	s_delay_alu instid0(VALU_DEP_2) | instskip(NEXT) | instid1(VALU_DEP_2)
	v_add_f64 v[36:37], v[36:37], s[64:65]
	v_add_f64 v[54:55], v[40:41], s[62:63]
	s_delay_alu instid0(VALU_DEP_1) | instskip(NEXT) | instid1(VALU_DEP_1)
	v_add_f64 v[38:39], v[38:39], -v[54:55]
	v_add_f64 v[36:37], v[36:37], v[38:39]
	s_delay_alu instid0(VALU_DEP_1) | instskip(NEXT) | instid1(VALU_DEP_1)
	v_add_f64 v[38:39], v[40:41], v[36:37]
	v_add_f64 v[40:41], v[40:41], -v[38:39]
	s_delay_alu instid0(VALU_DEP_1) | instskip(SKIP_1) | instid1(VALU_DEP_1)
	v_add_f64 v[36:37], v[36:37], v[40:41]
	v_mul_f64 v[40:41], v[34:35], v[38:39]
	v_fma_f64 v[54:55], v[34:35], v[38:39], -v[40:41]
	s_delay_alu instid0(VALU_DEP_1) | instskip(NEXT) | instid1(VALU_DEP_1)
	v_fma_f64 v[34:35], v[34:35], v[36:37], v[54:55]
	v_fma_f64 v[32:33], v[32:33], v[38:39], v[34:35]
	s_delay_alu instid0(VALU_DEP_1) | instskip(NEXT) | instid1(VALU_DEP_1)
	v_add_f64 v[34:35], v[40:41], v[32:33]
	v_add_f64 v[36:37], v[34:35], -v[40:41]
	s_delay_alu instid0(VALU_DEP_1) | instskip(SKIP_1) | instid1(VALU_DEP_2)
	v_add_f64 v[32:33], v[32:33], -v[36:37]
	v_add_f64 v[36:37], v[46:47], v[34:35]
	v_add_f64 v[32:33], v[52:53], v[32:33]
	s_delay_alu instid0(VALU_DEP_2) | instskip(NEXT) | instid1(VALU_DEP_1)
	v_add_f64 v[38:39], v[36:37], -v[46:47]
	v_add_f64 v[34:35], v[34:35], -v[38:39]
	s_delay_alu instid0(VALU_DEP_1) | instskip(NEXT) | instid1(VALU_DEP_1)
	v_add_f64 v[32:33], v[32:33], v[34:35]
	v_add_f64 v[34:35], v[36:37], v[32:33]
	s_delay_alu instid0(VALU_DEP_1) | instskip(NEXT) | instid1(VALU_DEP_1)
	v_add_f64 v[36:37], v[34:35], -v[36:37]
	v_add_f64 v[32:33], v[32:33], -v[36:37]
	v_add_f64 v[36:37], v[48:49], v[34:35]
	s_delay_alu instid0(VALU_DEP_1) | instskip(NEXT) | instid1(VALU_DEP_1)
	v_add_f64 v[38:39], v[36:37], -v[48:49]
	v_add_f64 v[40:41], v[36:37], -v[38:39]
	;; [unrolled: 1-line block ×3, first 2 shown]
	v_add_f64 v[38:39], v[42:43], v[32:33]
	s_delay_alu instid0(VALU_DEP_3) | instskip(NEXT) | instid1(VALU_DEP_1)
	v_add_f64 v[40:41], v[48:49], -v[40:41]
	v_add_f64 v[34:35], v[34:35], v[40:41]
	s_delay_alu instid0(VALU_DEP_3) | instskip(NEXT) | instid1(VALU_DEP_2)
	v_add_f64 v[40:41], v[38:39], -v[42:43]
	v_add_f64 v[34:35], v[38:39], v[34:35]
	s_delay_alu instid0(VALU_DEP_2) | instskip(SKIP_1) | instid1(VALU_DEP_3)
	v_add_f64 v[46:47], v[38:39], -v[40:41]
	v_add_f64 v[32:33], v[32:33], -v[40:41]
	v_add_f64 v[38:39], v[36:37], v[34:35]
	s_delay_alu instid0(VALU_DEP_3) | instskip(NEXT) | instid1(VALU_DEP_2)
	v_add_f64 v[42:43], v[42:43], -v[46:47]
	v_add_f64 v[36:37], v[38:39], -v[36:37]
	s_delay_alu instid0(VALU_DEP_2) | instskip(NEXT) | instid1(VALU_DEP_2)
	v_add_f64 v[32:33], v[32:33], v[42:43]
	v_add_f64 v[34:35], v[34:35], -v[36:37]
	s_delay_alu instid0(VALU_DEP_1) | instskip(NEXT) | instid1(VALU_DEP_1)
	v_add_f64 v[32:33], v[32:33], v[34:35]
	v_add_f64 v[34:35], v[38:39], v[32:33]
	s_delay_alu instid0(VALU_DEP_1) | instskip(NEXT) | instid1(VALU_DEP_1)
	v_add_f64 v[36:37], v[34:35], -v[38:39]
	v_add_f64 v[32:33], v[32:33], -v[36:37]
	v_mul_f64 v[36:37], s[38:39], v[34:35]
	s_delay_alu instid0(VALU_DEP_1) | instskip(SKIP_1) | instid1(VALU_DEP_2)
	v_fma_f64 v[34:35], s[38:39], v[34:35], -v[36:37]
	v_cmp_class_f64_e64 vcc_lo, v[36:37], 0x204
	v_fma_f64 v[32:33], s[38:39], v[32:33], v[34:35]
	s_delay_alu instid0(VALU_DEP_1) | instskip(NEXT) | instid1(VALU_DEP_1)
	v_add_f64 v[34:35], v[36:37], v[32:33]
	v_add_f64 v[38:39], v[34:35], -v[36:37]
	v_dual_cndmask_b32 v35, v35, v37 :: v_dual_cndmask_b32 v34, v34, v36
	s_delay_alu instid0(VALU_DEP_1) | instskip(SKIP_1) | instid1(VALU_DEP_4)
	v_mul_f64 v[36:37], v[34:35], s[66:67]
	v_cmp_neq_f64_e64 vcc_lo, 0x7ff00000, |v[34:35]|
	v_add_f64 v[32:33], v[32:33], -v[38:39]
	s_delay_alu instid0(VALU_DEP_3) | instskip(NEXT) | instid1(VALU_DEP_2)
	v_rndne_f64_e32 v[36:37], v[36:37]
	v_dual_cndmask_b32 v33, 0, v33 :: v_dual_cndmask_b32 v32, 0, v32
	v_cmp_lt_f64_e32 vcc_lo, 0x40900000, v[34:35]
	s_delay_alu instid0(VALU_DEP_3) | instskip(SKIP_2) | instid1(VALU_DEP_2)
	v_fma_f64 v[38:39], v[36:37], s[68:69], v[34:35]
	s_and_b32 s1, vcc_lo, exec_lo
	v_cmp_ngt_f64_e64 s1, 0xc090cc00, v[34:35]
	v_fma_f64 v[38:39], v[36:37], s[82:83], v[38:39]
	v_cvt_i32_f64_e32 v36, v[36:37]
	s_delay_alu instid0(VALU_DEP_2) | instskip(NEXT) | instid1(VALU_DEP_1)
	v_fma_f64 v[40:41], v[38:39], s[72:73], s[70:71]
	v_fma_f64 v[40:41], v[38:39], v[40:41], s[74:75]
	s_delay_alu instid0(VALU_DEP_1) | instskip(NEXT) | instid1(VALU_DEP_1)
	v_fma_f64 v[40:41], v[38:39], v[40:41], s[76:77]
	v_fma_f64 v[40:41], v[38:39], v[40:41], s[78:79]
	s_delay_alu instid0(VALU_DEP_1) | instskip(NEXT) | instid1(VALU_DEP_1)
	;; [unrolled: 3-line block ×4, first 2 shown]
	v_fma_f64 v[40:41], v[38:39], v[40:41], s[90:91]
	v_fma_f64 v[40:41], v[38:39], v[40:41], 1.0
	s_delay_alu instid0(VALU_DEP_1) | instskip(NEXT) | instid1(VALU_DEP_1)
	v_fma_f64 v[38:39], v[38:39], v[40:41], 1.0
	v_ldexp_f64 v[36:37], v[38:39], v36
	s_delay_alu instid0(VALU_DEP_1) | instskip(NEXT) | instid1(VALU_DEP_2)
	v_readfirstlane_b32 s2, v36
	v_cndmask_b32_e64 v36, v37, 0x7ff00000, vcc_lo
	v_and_b32_e32 v37, 0x7fffffff, v37
	s_delay_alu instid0(VALU_DEP_3) | instskip(NEXT) | instid1(VALU_DEP_2)
	s_cselect_b32 s31, 0, s2
	v_cndmask_b32_e64 v35, 0, v36, s1
	v_mov_b32_e32 v36, s2
	s_and_b32 s33, s1, exec_lo
	s_cselect_b32 s31, s31, 0
	s_delay_alu instid0(SALU_CYCLE_1) | instskip(NEXT) | instid1(VALU_DEP_2)
	v_mov_b32_e32 v34, s31
	v_cmp_eq_f64_e64 s2, 0x7ff00000, v[36:37]
	s_delay_alu instid0(VALU_DEP_2) | instskip(NEXT) | instid1(VALU_DEP_2)
	v_fma_f64 v[32:33], v[34:35], v[32:33], v[34:35]
	s_or_b32 s2, vcc_lo, s2
	s_delay_alu instid0(SALU_CYCLE_1) | instskip(NEXT) | instid1(VALU_DEP_1)
	s_and_b32 vcc_lo, s1, s2
	v_readfirstlane_b32 s1, v32
	s_delay_alu instid0(VALU_DEP_2) | instskip(SKIP_4) | instid1(VALU_DEP_2)
	v_cndmask_b32_e32 v36, v33, v35, vcc_lo
	v_trunc_f64_e32 v[32:33], s[38:39]
	s_and_b32 s2, vcc_lo, exec_lo
	v_cmp_gt_f64_e64 s2, 0, v[30:31]
	s_cselect_b32 s31, s31, s1
	v_cmp_eq_f64_e32 vcc_lo, s[38:39], v[32:33]
	v_mul_f64 v[32:33], s[38:39], 0.5
	s_delay_alu instid0(VALU_DEP_1) | instskip(NEXT) | instid1(VALU_DEP_1)
	v_trunc_f64_e32 v[34:35], v[32:33]
	v_cmp_neq_f64_e64 s1, v[34:35], v[32:33]
	s_delay_alu instid0(VALU_DEP_1)
	s_and_b32 s1, vcc_lo, s1
	s_and_b32 s33, vcc_lo, exec_lo
	v_cndmask_b32_e64 v32, 0x3ff00000, v31, s1
	s_cselect_b32 s33, s31, 0
	s_and_b32 s38, s2, exec_lo
	s_cselect_b32 s31, s33, s31
	s_delay_alu instid0(VALU_DEP_1) | instskip(NEXT) | instid1(VALU_DEP_1)
	v_bfi_b32 v32, 0x7fffffff, v36, v32
	v_cndmask_b32_e32 v33, 0x7ff80000, v32, vcc_lo
	v_cmp_eq_f64_e32 vcc_lo, 0, v[30:31]
	s_delay_alu instid0(VALU_DEP_2) | instskip(SKIP_2) | instid1(VALU_DEP_2)
	v_cndmask_b32_e64 v32, v32, v33, s2
	v_cmp_class_f64_e64 s2, v[30:31], 0x204
	v_cndmask_b32_e64 v33, 0, v31, s1
	s_or_b32 s2, vcc_lo, s2
	s_and_b32 s33, vcc_lo, exec_lo
	v_cmp_o_f64_e32 vcc_lo, v[30:31], v[30:31]
	s_cselect_b32 s33, 0, 0x7ff00000
	s_and_b32 s1, s2, exec_lo
	v_bfi_b32 v33, 0x7fffffff, s33, v33
	s_cselect_b32 s1, 0, s31
	s_delay_alu instid0(VALU_DEP_1) | instskip(SKIP_2) | instid1(VALU_DEP_1)
	v_cndmask_b32_e64 v32, v32, v33, s2
	s_and_b32 s2, vcc_lo, exec_lo
	s_cselect_b32 s1, s1, 0
	v_cndmask_b32_e32 v31, 0x7ff80000, v32, vcc_lo
	v_mov_b32_e32 v30, s1
	s_mov_b32 s2, s84
	s_delay_alu instid0(VALU_DEP_1) | instskip(SKIP_1) | instid1(VALU_DEP_1)
	v_fma_f64 v[12:13], v[30:31], v[12:13], 1.0
	v_add_f64 v[30:31], -s[8:9], 1.0
	v_cmp_eq_f64_e32 vcc_lo, 1.0, v[30:31]
	v_frexp_mant_f64_e64 v[32:33], |v[30:31]|
	v_frexp_exp_i32_f64_e32 v34, v[30:31]
	s_and_b32 s1, vcc_lo, exec_lo
	s_delay_alu instid0(VALU_DEP_2) | instskip(SKIP_4) | instid1(VALU_DEP_2)
	v_cmp_gt_f64_e32 vcc_lo, s[34:35], v[32:33]
	s_cselect_b32 s39, s3, 0x3fd55555
	s_cselect_b32 s38, 0, 0x55555555
	s_and_b32 s1, vcc_lo, exec_lo
	s_cselect_b32 s31, 2.0, 0x3ff00000
	v_subrev_co_ci_u32_e32 v48, vcc_lo, 0, v34, vcc_lo
	v_mul_f64 v[32:33], v[32:33], s[30:31]
	s_mov_b32 s1, s35
	v_writelane_b32 v171, s0, 0
	v_writelane_b32 v171, s1, 1
	s_mov_b32 s1, s63
	v_writelane_b32 v171, s0, 2
	v_writelane_b32 v171, s1, 3
	;; [unrolled: 3-line block ×3, first 2 shown]
	v_writelane_b32 v171, s2, 6
	v_writelane_b32 v171, s3, 7
	v_add_f64 v[36:37], v[32:33], 1.0
	v_add_f64 v[34:35], v[32:33], -1.0
	s_mov_b32 s2, s86
	s_delay_alu instid0(SALU_CYCLE_1) | instskip(SKIP_1) | instid1(VALU_DEP_4)
	v_writelane_b32 v171, s2, 8
	v_writelane_b32 v171, s3, 9
	v_add_f64 v[38:39], v[36:37], -1.0
	s_delay_alu instid0(VALU_DEP_1) | instskip(SKIP_3) | instid1(VALU_DEP_1)
	v_add_f64 v[32:33], v[32:33], -v[38:39]
	v_rcp_f64_e32 v[38:39], v[36:37]
	s_waitcnt_depctr 0xfff
	v_fma_f64 v[40:41], -v[36:37], v[38:39], 1.0
	v_fma_f64 v[38:39], v[40:41], v[38:39], v[38:39]
	s_delay_alu instid0(VALU_DEP_1) | instskip(NEXT) | instid1(VALU_DEP_1)
	v_fma_f64 v[40:41], -v[36:37], v[38:39], 1.0
	v_fma_f64 v[38:39], v[40:41], v[38:39], v[38:39]
	s_delay_alu instid0(VALU_DEP_1) | instskip(NEXT) | instid1(VALU_DEP_1)
	v_mul_f64 v[40:41], v[34:35], v[38:39]
	v_mul_f64 v[42:43], v[36:37], v[40:41]
	s_delay_alu instid0(VALU_DEP_1) | instskip(NEXT) | instid1(VALU_DEP_1)
	v_fma_f64 v[36:37], v[40:41], v[36:37], -v[42:43]
	v_fma_f64 v[32:33], v[40:41], v[32:33], v[36:37]
	s_delay_alu instid0(VALU_DEP_1) | instskip(NEXT) | instid1(VALU_DEP_1)
	v_add_f64 v[36:37], v[42:43], v[32:33]
	v_add_f64 v[46:47], v[34:35], -v[36:37]
	v_add_f64 v[42:43], v[36:37], -v[42:43]
	s_delay_alu instid0(VALU_DEP_2) | instskip(NEXT) | instid1(VALU_DEP_2)
	v_add_f64 v[34:35], v[34:35], -v[46:47]
	v_add_f64 v[32:33], v[42:43], -v[32:33]
	v_cvt_f64_i32_e32 v[42:43], v48
	s_delay_alu instid0(VALU_DEP_3) | instskip(NEXT) | instid1(VALU_DEP_1)
	v_add_f64 v[34:35], v[34:35], -v[36:37]
	v_add_f64 v[32:33], v[32:33], v[34:35]
	s_delay_alu instid0(VALU_DEP_1) | instskip(NEXT) | instid1(VALU_DEP_4)
	v_add_f64 v[32:33], v[46:47], v[32:33]
	v_mul_f64 v[46:47], v[42:43], s[58:59]
	s_delay_alu instid0(VALU_DEP_2) | instskip(NEXT) | instid1(VALU_DEP_2)
	v_mul_f64 v[32:33], v[38:39], v[32:33]
	v_fma_f64 v[48:49], v[42:43], s[58:59], -v[46:47]
	s_mov_b32 s58, 0x2e2bb280
	s_mov_b32 s59, 0x3fd9c3d0
	s_delay_alu instid0(VALU_DEP_2) | instskip(NEXT) | instid1(VALU_DEP_2)
	v_add_f64 v[34:35], v[40:41], v[32:33]
	v_fma_f64 v[42:43], v[42:43], s[60:61], v[48:49]
	s_mov_b32 s60, 0x12f684be
	s_mov_b32 s61, 0x3fa54bda
	s_delay_alu instid0(VALU_DEP_2) | instskip(NEXT) | instid1(VALU_DEP_2)
	v_add_f64 v[36:37], v[34:35], -v[40:41]
	v_add_f64 v[48:49], v[46:47], v[42:43]
	s_delay_alu instid0(VALU_DEP_2) | instskip(SKIP_1) | instid1(VALU_DEP_3)
	v_add_f64 v[32:33], v[32:33], -v[36:37]
	v_mul_f64 v[36:37], v[34:35], v[34:35]
	v_add_f64 v[46:47], v[48:49], -v[46:47]
	s_delay_alu instid0(VALU_DEP_3) | instskip(NEXT) | instid1(VALU_DEP_3)
	v_add_f64 v[40:41], v[32:33], v[32:33]
	v_fma_f64 v[38:39], v[34:35], v[34:35], -v[36:37]
	v_ldexp_f64 v[52:53], v[32:33], 1
	s_delay_alu instid0(VALU_DEP_4) | instskip(SKIP_1) | instid1(VALU_DEP_4)
	v_add_f64 v[42:43], v[42:43], -v[46:47]
	v_ldexp_f64 v[46:47], v[34:35], 1
	v_fma_f64 v[38:39], v[34:35], v[40:41], v[38:39]
	s_delay_alu instid0(VALU_DEP_1) | instskip(NEXT) | instid1(VALU_DEP_1)
	v_add_f64 v[40:41], v[36:37], v[38:39]
	v_add_f64 v[36:37], v[40:41], -v[36:37]
	v_mul_f64 v[54:55], v[34:35], v[40:41]
	s_delay_alu instid0(VALU_DEP_2) | instskip(SKIP_1) | instid1(VALU_DEP_3)
	v_add_f64 v[36:37], v[38:39], -v[36:37]
	v_fma_f64 v[38:39], v[40:41], s[42:43], s[40:41]
	v_fma_f64 v[56:57], v[40:41], v[34:35], -v[54:55]
	s_mov_b32 s42, 0xcccccccd
	s_mov_b32 s43, 0x3fcccccc
	;; [unrolled: 1-line block ×3, first 2 shown]
	s_delay_alu instid0(VALU_DEP_2) | instskip(NEXT) | instid1(VALU_DEP_2)
	v_fma_f64 v[38:39], v[40:41], v[38:39], s[44:45]
	v_fma_f64 v[32:33], v[40:41], v[32:33], v[56:57]
	s_mov_b32 s44, 0x33333333
	s_mov_b32 s45, 0x3fb33333
	s_delay_alu instid0(VALU_DEP_2) | instskip(NEXT) | instid1(VALU_DEP_2)
	v_fma_f64 v[38:39], v[40:41], v[38:39], s[46:47]
	v_fma_f64 v[32:33], v[36:37], v[34:35], v[32:33]
	s_mov_b32 s46, 0x84bda12f
	s_mov_b32 s47, 0xbfca12f6
	s_delay_alu instid0(VALU_DEP_2) | instskip(NEXT) | instid1(VALU_DEP_2)
	v_fma_f64 v[38:39], v[40:41], v[38:39], s[48:49]
	v_add_f64 v[34:35], v[54:55], v[32:33]
	s_mov_b32 s49, 0x3ff4bda1
	s_delay_alu instid0(VALU_DEP_2) | instskip(NEXT) | instid1(VALU_DEP_2)
	v_fma_f64 v[38:39], v[40:41], v[38:39], s[50:51]
	v_add_f64 v[54:55], v[34:35], -v[54:55]
	s_mov_b32 s50, 0x2f684bda
	s_mov_b32 s51, 0xc004bda1
	s_delay_alu instid0(VALU_DEP_2) | instskip(NEXT) | instid1(VALU_DEP_2)
	v_fma_f64 v[38:39], v[40:41], v[38:39], s[52:53]
	v_add_f64 v[32:33], v[32:33], -v[54:55]
	s_mov_b32 s52, 0xed097b42
	s_mov_b32 s53, 0x3f9e3425
	s_delay_alu instid0(VALU_DEP_2) | instskip(SKIP_2) | instid1(VALU_DEP_1)
	v_fma_f64 v[38:39], v[40:41], v[38:39], s[54:55]
	s_mov_b32 s54, 0xa34ca0c3
	s_mov_b32 s55, 0x3f28c5c9
	v_fma_f64 v[38:39], v[40:41], v[38:39], s[56:57]
	s_mov_b32 s57, 0x3fb99999
	s_delay_alu instid0(VALU_DEP_1) | instskip(NEXT) | instid1(VALU_DEP_1)
	v_mul_f64 v[54:55], v[40:41], v[38:39]
	v_fma_f64 v[40:41], v[40:41], v[38:39], -v[54:55]
	s_delay_alu instid0(VALU_DEP_1) | instskip(NEXT) | instid1(VALU_DEP_1)
	v_fma_f64 v[36:37], v[36:37], v[38:39], v[40:41]
	v_add_f64 v[38:39], v[54:55], v[36:37]
	s_delay_alu instid0(VALU_DEP_1) | instskip(NEXT) | instid1(VALU_DEP_1)
	v_add_f64 v[40:41], v[38:39], -v[54:55]
	v_add_f64 v[36:37], v[36:37], -v[40:41]
	v_add_f64 v[40:41], v[38:39], s[34:35]
	s_delay_alu instid0(VALU_DEP_2) | instskip(NEXT) | instid1(VALU_DEP_2)
	v_add_f64 v[36:37], v[36:37], s[64:65]
	v_add_f64 v[54:55], v[40:41], s[62:63]
	s_mov_b32 s62, 0x5ed097b4
	s_mov_b32 s64, 0x76166929
	;; [unrolled: 1-line block ×4, first 2 shown]
	s_delay_alu instid0(VALU_DEP_1) | instskip(NEXT) | instid1(VALU_DEP_1)
	v_add_f64 v[38:39], v[38:39], -v[54:55]
	v_add_f64 v[36:37], v[36:37], v[38:39]
	s_delay_alu instid0(VALU_DEP_1) | instskip(NEXT) | instid1(VALU_DEP_1)
	v_add_f64 v[38:39], v[40:41], v[36:37]
	v_add_f64 v[40:41], v[40:41], -v[38:39]
	s_delay_alu instid0(VALU_DEP_1) | instskip(SKIP_1) | instid1(VALU_DEP_1)
	v_add_f64 v[36:37], v[36:37], v[40:41]
	v_mul_f64 v[40:41], v[34:35], v[38:39]
	v_fma_f64 v[54:55], v[34:35], v[38:39], -v[40:41]
	s_delay_alu instid0(VALU_DEP_1) | instskip(NEXT) | instid1(VALU_DEP_1)
	v_fma_f64 v[34:35], v[34:35], v[36:37], v[54:55]
	v_fma_f64 v[32:33], v[32:33], v[38:39], v[34:35]
	s_delay_alu instid0(VALU_DEP_1) | instskip(NEXT) | instid1(VALU_DEP_1)
	v_add_f64 v[34:35], v[40:41], v[32:33]
	v_add_f64 v[36:37], v[34:35], -v[40:41]
	s_delay_alu instid0(VALU_DEP_1) | instskip(SKIP_1) | instid1(VALU_DEP_2)
	v_add_f64 v[32:33], v[32:33], -v[36:37]
	v_add_f64 v[36:37], v[46:47], v[34:35]
	v_add_f64 v[32:33], v[52:53], v[32:33]
	s_delay_alu instid0(VALU_DEP_2) | instskip(NEXT) | instid1(VALU_DEP_1)
	v_add_f64 v[38:39], v[36:37], -v[46:47]
	v_add_f64 v[34:35], v[34:35], -v[38:39]
	s_delay_alu instid0(VALU_DEP_1) | instskip(NEXT) | instid1(VALU_DEP_1)
	v_add_f64 v[32:33], v[32:33], v[34:35]
	v_add_f64 v[34:35], v[36:37], v[32:33]
	s_delay_alu instid0(VALU_DEP_1) | instskip(NEXT) | instid1(VALU_DEP_1)
	v_add_f64 v[36:37], v[34:35], -v[36:37]
	v_add_f64 v[32:33], v[32:33], -v[36:37]
	v_add_f64 v[36:37], v[48:49], v[34:35]
	s_delay_alu instid0(VALU_DEP_1) | instskip(NEXT) | instid1(VALU_DEP_1)
	v_add_f64 v[38:39], v[36:37], -v[48:49]
	v_add_f64 v[40:41], v[36:37], -v[38:39]
	;; [unrolled: 1-line block ×3, first 2 shown]
	v_add_f64 v[38:39], v[42:43], v[32:33]
	s_delay_alu instid0(VALU_DEP_3) | instskip(NEXT) | instid1(VALU_DEP_1)
	v_add_f64 v[40:41], v[48:49], -v[40:41]
	v_add_f64 v[34:35], v[34:35], v[40:41]
	s_delay_alu instid0(VALU_DEP_3) | instskip(NEXT) | instid1(VALU_DEP_2)
	v_add_f64 v[40:41], v[38:39], -v[42:43]
	v_add_f64 v[34:35], v[38:39], v[34:35]
	s_delay_alu instid0(VALU_DEP_2) | instskip(SKIP_1) | instid1(VALU_DEP_3)
	v_add_f64 v[46:47], v[38:39], -v[40:41]
	v_add_f64 v[32:33], v[32:33], -v[40:41]
	v_add_f64 v[38:39], v[36:37], v[34:35]
	s_delay_alu instid0(VALU_DEP_3) | instskip(NEXT) | instid1(VALU_DEP_2)
	v_add_f64 v[42:43], v[42:43], -v[46:47]
	v_add_f64 v[36:37], v[38:39], -v[36:37]
	s_delay_alu instid0(VALU_DEP_2) | instskip(NEXT) | instid1(VALU_DEP_2)
	v_add_f64 v[32:33], v[32:33], v[42:43]
	v_add_f64 v[34:35], v[34:35], -v[36:37]
	s_delay_alu instid0(VALU_DEP_1) | instskip(NEXT) | instid1(VALU_DEP_1)
	v_add_f64 v[32:33], v[32:33], v[34:35]
	v_add_f64 v[34:35], v[38:39], v[32:33]
	s_delay_alu instid0(VALU_DEP_1) | instskip(NEXT) | instid1(VALU_DEP_1)
	v_add_f64 v[36:37], v[34:35], -v[38:39]
	v_add_f64 v[32:33], v[32:33], -v[36:37]
	v_mul_f64 v[36:37], s[38:39], v[34:35]
	s_delay_alu instid0(VALU_DEP_1) | instskip(SKIP_1) | instid1(VALU_DEP_2)
	v_fma_f64 v[34:35], s[38:39], v[34:35], -v[36:37]
	v_cmp_class_f64_e64 vcc_lo, v[36:37], 0x204
	v_fma_f64 v[32:33], s[38:39], v[32:33], v[34:35]
	s_delay_alu instid0(VALU_DEP_1) | instskip(NEXT) | instid1(VALU_DEP_1)
	v_add_f64 v[34:35], v[36:37], v[32:33]
	v_add_f64 v[38:39], v[34:35], -v[36:37]
	v_dual_cndmask_b32 v35, v35, v37 :: v_dual_cndmask_b32 v34, v34, v36
	s_delay_alu instid0(VALU_DEP_1) | instskip(SKIP_3) | instid1(VALU_DEP_4)
	v_mul_f64 v[36:37], v[34:35], s[66:67]
	v_cmp_neq_f64_e64 vcc_lo, 0x7ff00000, |v[34:35]|
	s_mov_b32 s66, 0x85dab4b0
	s_mov_b32 s67, 0x3fd280a6
	v_add_f64 v[32:33], v[32:33], -v[38:39]
	s_delay_alu instid0(VALU_DEP_3) | instskip(NEXT) | instid1(VALU_DEP_2)
	v_rndne_f64_e32 v[36:37], v[36:37]
	v_dual_cndmask_b32 v33, 0, v33 :: v_dual_cndmask_b32 v32, 0, v32
	v_cmp_lt_f64_e32 vcc_lo, 0x40900000, v[34:35]
	s_delay_alu instid0(VALU_DEP_3) | instskip(SKIP_4) | instid1(VALU_DEP_2)
	v_fma_f64 v[38:39], v[36:37], s[68:69], v[34:35]
	s_mov_b32 s68, 0x65965970
	s_mov_b32 s69, 0x3f719659
	s_and_b32 s1, vcc_lo, exec_lo
	v_cmp_ngt_f64_e64 s1, 0xc090cc00, v[34:35]
	v_fma_f64 v[38:39], v[36:37], s[82:83], v[38:39]
	v_cvt_i32_f64_e32 v36, v[36:37]
	s_delay_alu instid0(VALU_DEP_2) | instskip(SKIP_4) | instid1(VALU_DEP_1)
	v_fma_f64 v[40:41], v[38:39], s[72:73], s[70:71]
	s_mov_b32 s70, 0x9af15610
	s_mov_b32 s72, 0x8676f310
	;; [unrolled: 1-line block ×4, first 2 shown]
	v_fma_f64 v[40:41], v[38:39], v[40:41], s[74:75]
	s_mov_b32 s75, 0x3f93c924
	s_delay_alu instid0(VALU_DEP_1) | instskip(SKIP_2) | instid1(VALU_DEP_1)
	v_fma_f64 v[40:41], v[38:39], v[40:41], s[76:77]
	s_mov_b32 s76, 0x92492492
	s_mov_b32 s77, 0xbf93c924
	v_fma_f64 v[40:41], v[38:39], v[40:41], s[78:79]
	s_mov_b32 s78, 0x2ed5a580
	s_mov_b32 s79, 0x3fa40534
	s_delay_alu instid0(VALU_DEP_1) | instskip(SKIP_1) | instid1(VALU_DEP_1)
	v_fma_f64 v[40:41], v[38:39], v[40:41], s[80:81]
	s_mov_b32 s80, 0x53c8d4f1
	v_fma_f64 v[40:41], v[38:39], v[40:41], s[84:85]
	s_mov_b32 s84, 0x1e900000
	s_mov_b32 s85, 0x42d6bcc4
	s_delay_alu instid0(VALU_DEP_1) | instskip(SKIP_1) | instid1(VALU_DEP_1)
	v_fma_f64 v[40:41], v[38:39], v[40:41], s[86:87]
	;; [unrolled: 6-line block ×3, first 2 shown]
	s_mov_b32 s91, 0x3c91a626
	v_fma_f64 v[40:41], v[38:39], v[40:41], 1.0
	s_delay_alu instid0(VALU_DEP_1) | instskip(NEXT) | instid1(VALU_DEP_1)
	v_fma_f64 v[38:39], v[38:39], v[40:41], 1.0
	v_ldexp_f64 v[36:37], v[38:39], v36
	s_delay_alu instid0(VALU_DEP_1) | instskip(NEXT) | instid1(VALU_DEP_2)
	v_readfirstlane_b32 s2, v36
	v_cndmask_b32_e64 v36, v37, 0x7ff00000, vcc_lo
	v_and_b32_e32 v37, 0x7fffffff, v37
	s_delay_alu instid0(VALU_DEP_3) | instskip(NEXT) | instid1(VALU_DEP_2)
	s_cselect_b32 s3, 0, s2
	v_cndmask_b32_e64 v35, 0, v36, s1
	v_mov_b32_e32 v36, s2
	s_and_b32 s31, s1, exec_lo
	s_cselect_b32 s3, s3, 0
	s_delay_alu instid0(SALU_CYCLE_1) | instskip(NEXT) | instid1(VALU_DEP_2)
	v_mov_b32_e32 v34, s3
	v_cmp_eq_f64_e64 s2, 0x7ff00000, v[36:37]
	s_delay_alu instid0(VALU_DEP_2) | instskip(NEXT) | instid1(VALU_DEP_2)
	v_fma_f64 v[32:33], v[34:35], v[32:33], v[34:35]
	s_or_b32 s2, vcc_lo, s2
	s_delay_alu instid0(SALU_CYCLE_1) | instskip(NEXT) | instid1(VALU_DEP_1)
	s_and_b32 vcc_lo, s1, s2
	v_readfirstlane_b32 s1, v32
	s_delay_alu instid0(VALU_DEP_2) | instskip(SKIP_4) | instid1(VALU_DEP_2)
	v_cndmask_b32_e32 v36, v33, v35, vcc_lo
	v_trunc_f64_e32 v[32:33], s[38:39]
	s_and_b32 s2, vcc_lo, exec_lo
	v_cmp_gt_f64_e64 s2, 0, v[30:31]
	s_cselect_b32 s3, s3, s1
	v_cmp_eq_f64_e32 vcc_lo, s[38:39], v[32:33]
	v_mul_f64 v[32:33], s[38:39], 0.5
	s_mov_b32 s39, 0x3ff33333
	s_delay_alu instid0(VALU_DEP_1) | instskip(NEXT) | instid1(VALU_DEP_1)
	v_trunc_f64_e32 v[34:35], v[32:33]
	v_cmp_neq_f64_e64 s1, v[34:35], v[32:33]
	s_delay_alu instid0(VALU_DEP_1)
	s_and_b32 s1, vcc_lo, s1
	s_and_b32 s31, vcc_lo, exec_lo
	v_cndmask_b32_e64 v32, 0x3ff00000, v31, s1
	s_cselect_b32 s31, s3, 0
	s_and_b32 s33, s2, exec_lo
	s_cselect_b32 s3, s31, s3
                                        ; implicit-def: $sgpr33
	s_delay_alu instid0(VALU_DEP_1) | instskip(NEXT) | instid1(VALU_DEP_1)
	v_bfi_b32 v32, 0x7fffffff, v36, v32
	v_cndmask_b32_e32 v33, 0x7ff80000, v32, vcc_lo
	v_cmp_eq_f64_e32 vcc_lo, 0, v[30:31]
	s_delay_alu instid0(VALU_DEP_2) | instskip(SKIP_2) | instid1(VALU_DEP_2)
	v_cndmask_b32_e64 v32, v32, v33, s2
	v_cmp_class_f64_e64 s2, v[30:31], 0x204
	v_cndmask_b32_e64 v33, 0, v31, s1
	s_or_b32 s2, vcc_lo, s2
	s_and_b32 s31, vcc_lo, exec_lo
	v_cmp_o_f64_e32 vcc_lo, v[30:31], v[30:31]
	s_cselect_b32 s31, 0, 0x7ff00000
	s_and_b32 s1, s2, exec_lo
	v_bfi_b32 v33, 0x7fffffff, s31, v33
	s_cselect_b32 s1, 0, s3
	s_mov_b32 s3, 0x3ff921fb
                                        ; implicit-def: $sgpr31
	s_delay_alu instid0(VALU_DEP_1) | instskip(SKIP_2) | instid1(VALU_DEP_1)
	v_cndmask_b32_e64 v32, v32, v33, s2
	s_and_b32 s2, vcc_lo, exec_lo
	s_cselect_b32 s1, s1, 0
	v_cndmask_b32_e32 v31, 0x7ff80000, v32, vcc_lo
	v_mov_b32_e32 v30, s1
	s_delay_alu instid0(VALU_DEP_1) | instskip(SKIP_1) | instid1(VALU_DEP_2)
	v_add_f64 v[12:13], v[30:31], v[12:13]
	v_mul_f64 v[30:31], 0x40080000, s[8:9]
	v_mul_f64 v[32:33], v[12:13], v[12:13]
	s_delay_alu instid0(VALU_DEP_1) | instskip(NEXT) | instid1(VALU_DEP_1)
	v_fma_f64 v[30:31], s[8:9], v[30:31], v[32:33]
	v_cmp_gt_f64_e32 vcc_lo, 0x10000000, v[30:31]
	v_cndmask_b32_e64 v32, 0, 1, vcc_lo
	s_and_b32 s1, vcc_lo, exec_lo
	s_cselect_b32 s1, 0xffffff80, 0
	s_delay_alu instid0(VALU_DEP_1) | instskip(NEXT) | instid1(VALU_DEP_1)
	v_lshlrev_b32_e32 v32, 8, v32
	v_ldexp_f64 v[30:31], v[30:31], v32
	s_delay_alu instid0(VALU_DEP_1) | instskip(SKIP_4) | instid1(VALU_DEP_1)
	v_rsq_f64_e32 v[32:33], v[30:31]
	v_cmp_class_f64_e64 vcc_lo, v[30:31], 0x260
	s_waitcnt_depctr 0xfff
	v_mul_f64 v[34:35], v[30:31], v[32:33]
	v_mul_f64 v[32:33], v[32:33], 0.5
	v_fma_f64 v[36:37], -v[32:33], v[34:35], 0.5
	s_delay_alu instid0(VALU_DEP_1) | instskip(SKIP_1) | instid1(VALU_DEP_2)
	v_fma_f64 v[34:35], v[34:35], v[36:37], v[34:35]
	v_fma_f64 v[32:33], v[32:33], v[36:37], v[32:33]
	v_fma_f64 v[38:39], -v[34:35], v[34:35], v[30:31]
	s_delay_alu instid0(VALU_DEP_1) | instskip(NEXT) | instid1(VALU_DEP_1)
	v_fma_f64 v[34:35], v[38:39], v[32:33], v[34:35]
	v_fma_f64 v[36:37], -v[34:35], v[34:35], v[30:31]
	s_delay_alu instid0(VALU_DEP_1) | instskip(SKIP_2) | instid1(VALU_DEP_3)
	v_fma_f64 v[32:33], v[36:37], v[32:33], v[34:35]
	v_add_f64 v[34:35], 0x40080000, -v[12:13]
	v_add_f64 v[12:13], 0x40080000, v[12:13]
	v_ldexp_f64 v[32:33], v[32:33], s1
	s_delay_alu instid0(VALU_DEP_1) | instskip(NEXT) | instid1(VALU_DEP_1)
	v_dual_cndmask_b32 v31, v33, v31 :: v_dual_cndmask_b32 v30, v32, v30
	v_fma_f64 v[12:13], v[30:31], 2.0, v[12:13]
	v_add_f64 v[32:33], 0x40080000, v[30:31]
	s_delay_alu instid0(VALU_DEP_2) | instskip(NEXT) | instid1(VALU_DEP_1)
	v_mul_f64 v[12:13], v[34:35], v[12:13]
	v_cmp_gt_f64_e32 vcc_lo, 0x10000000, v[12:13]
	v_cndmask_b32_e64 v30, 0, 1, vcc_lo
	s_and_b32 s1, vcc_lo, exec_lo
	s_cselect_b32 s1, 0xffffff80, 0
	s_delay_alu instid0(VALU_DEP_1) | instskip(NEXT) | instid1(VALU_DEP_1)
	v_lshlrev_b32_e32 v30, 8, v30
	v_ldexp_f64 v[12:13], v[12:13], v30
	s_delay_alu instid0(VALU_DEP_1) | instskip(SKIP_4) | instid1(VALU_DEP_1)
	v_rsq_f64_e32 v[30:31], v[12:13]
	v_cmp_class_f64_e64 vcc_lo, v[12:13], 0x260
	s_waitcnt_depctr 0xfff
	v_mul_f64 v[34:35], v[12:13], v[30:31]
	v_mul_f64 v[30:31], v[30:31], 0.5
	v_fma_f64 v[36:37], -v[30:31], v[34:35], 0.5
	s_delay_alu instid0(VALU_DEP_1) | instskip(SKIP_1) | instid1(VALU_DEP_2)
	v_fma_f64 v[34:35], v[34:35], v[36:37], v[34:35]
	v_fma_f64 v[30:31], v[30:31], v[36:37], v[30:31]
	v_fma_f64 v[38:39], -v[34:35], v[34:35], v[12:13]
	s_delay_alu instid0(VALU_DEP_1) | instskip(NEXT) | instid1(VALU_DEP_1)
	v_fma_f64 v[34:35], v[38:39], v[30:31], v[34:35]
	v_fma_f64 v[36:37], -v[34:35], v[34:35], v[12:13]
	s_delay_alu instid0(VALU_DEP_1) | instskip(NEXT) | instid1(VALU_DEP_1)
	v_fma_f64 v[30:31], v[36:37], v[30:31], v[34:35]
	v_ldexp_f64 v[30:31], v[30:31], s1
	s_delay_alu instid0(VALU_DEP_1) | instskip(SKIP_1) | instid1(VALU_DEP_2)
	v_dual_cndmask_b32 v13, v31, v13 :: v_dual_cndmask_b32 v12, v30, v12
	v_mul_f64 v[30:31], v[18:19], v[18:19]
	v_add_f64 v[12:13], v[32:33], -v[12:13]
	s_delay_alu instid0(VALU_DEP_2) | instskip(SKIP_1) | instid1(VALU_DEP_3)
	v_mul_f64 v[32:33], v[30:31], 0.5
	v_fma_f64 v[38:39], v[30:31], s[6:7], s[4:5]
	v_cvt_f32_f64_e32 v12, v[12:13]
	s_delay_alu instid0(VALU_DEP_3) | instskip(NEXT) | instid1(VALU_DEP_3)
	v_add_f64 v[34:35], -v[32:33], 1.0
	v_fma_f64 v[38:39], v[30:31], v[38:39], s[10:11]
	s_delay_alu instid0(VALU_DEP_3) | instskip(NEXT) | instid1(VALU_DEP_3)
	v_cvt_f64_f32_e32 v[12:13], v12
	v_add_f64 v[36:37], -v[34:35], 1.0
	s_delay_alu instid0(VALU_DEP_3) | instskip(NEXT) | instid1(VALU_DEP_2)
	v_fma_f64 v[38:39], v[30:31], v[38:39], s[12:13]
	v_add_f64 v[32:33], v[36:37], -v[32:33]
	s_delay_alu instid0(VALU_DEP_2) | instskip(SKIP_1) | instid1(VALU_DEP_3)
	v_fma_f64 v[38:39], v[30:31], v[38:39], s[14:15]
	v_mul_f64 v[36:37], v[30:31], v[30:31]
	v_fma_f64 v[32:33], v[18:19], -v[20:21], v[32:33]
	s_delay_alu instid0(VALU_DEP_3) | instskip(NEXT) | instid1(VALU_DEP_1)
	v_fma_f64 v[38:39], v[30:31], v[38:39], s[16:17]
	v_fma_f64 v[32:33], v[36:37], v[38:39], v[32:33]
	v_mul_f64 v[36:37], v[18:19], -v[30:31]
	v_mul_f64 v[38:39], v[20:21], 0.5
	s_delay_alu instid0(VALU_DEP_3) | instskip(SKIP_1) | instid1(VALU_DEP_1)
	v_add_f64 v[32:33], v[34:35], v[32:33]
	v_fma_f64 v[34:35], v[30:31], s[20:21], s[18:19]
	v_fma_f64 v[34:35], v[30:31], v[34:35], s[22:23]
	s_delay_alu instid0(VALU_DEP_1) | instskip(NEXT) | instid1(VALU_DEP_1)
	v_fma_f64 v[34:35], v[30:31], v[34:35], s[24:25]
	v_fma_f64 v[34:35], v[30:31], v[34:35], s[26:27]
	s_delay_alu instid0(VALU_DEP_1) | instskip(NEXT) | instid1(VALU_DEP_1)
	v_fma_f64 v[34:35], v[36:37], v[34:35], v[38:39]
	v_fma_f64 v[20:21], v[30:31], v[34:35], -v[20:21]
	s_delay_alu instid0(VALU_DEP_1) | instskip(NEXT) | instid1(VALU_DEP_1)
	v_fma_f64 v[20:21], v[36:37], s[28:29], v[20:21]
	v_add_f64 v[18:19], v[18:19], -v[20:21]
	v_and_b32_e32 v20, 1, v74
	s_delay_alu instid0(VALU_DEP_1) | instskip(SKIP_1) | instid1(VALU_DEP_1)
	v_cmp_eq_u32_e32 vcc_lo, 0, v20
	v_lshlrev_b32_e32 v20, 30, v74
	v_xor_b32_e32 v20, v20, v5
	s_delay_alu instid0(VALU_DEP_1) | instskip(SKIP_2) | instid1(VALU_DEP_3)
	v_dual_cndmask_b32 v19, v33, v19 :: v_dual_and_b32 v20, 0x80000000, v20
	v_cndmask_b32_e32 v18, v32, v18, vcc_lo
	v_fma_f64 v[32:33], v[2:3], -2.0, v[14:15]
	v_xor_b32_e32 v19, v19, v20
	s_delay_alu instid0(VALU_DEP_3) | instskip(NEXT) | instid1(VALU_DEP_2)
	v_cndmask_b32_e64 v18, 0, v18, s0
	v_cndmask_b32_e64 v19, 0x7ff80000, v19, s0
	s_delay_alu instid0(VALU_DEP_1) | instskip(SKIP_1) | instid1(VALU_DEP_1)
	v_mul_f64 v[30:31], v[18:19], v[18:19]
	v_fma_f64 v[18:19], v[2:3], -2.0, v[44:45]
	v_add_f64 v[20:21], v[6:7], v[18:19]
	v_mul_f64 v[18:19], v[14:15], v[22:23]
	v_mul_f64 v[22:23], v[22:23], v[22:23]
	s_delay_alu instid0(VALU_DEP_2) | instskip(NEXT) | instid1(VALU_DEP_1)
	v_div_scale_f64 v[34:35], null, v[20:21], v[20:21], v[18:19]
	v_rcp_f64_e32 v[36:37], v[34:35]
	s_waitcnt_depctr 0xfff
	v_fma_f64 v[38:39], -v[34:35], v[36:37], 1.0
	s_delay_alu instid0(VALU_DEP_1) | instskip(NEXT) | instid1(VALU_DEP_1)
	v_fma_f64 v[36:37], v[36:37], v[38:39], v[36:37]
	v_fma_f64 v[38:39], -v[34:35], v[36:37], 1.0
	s_delay_alu instid0(VALU_DEP_1) | instskip(SKIP_1) | instid1(VALU_DEP_1)
	v_fma_f64 v[36:37], v[36:37], v[38:39], v[36:37]
	v_div_scale_f64 v[38:39], vcc_lo, v[18:19], v[20:21], v[18:19]
	v_mul_f64 v[40:41], v[38:39], v[36:37]
	s_delay_alu instid0(VALU_DEP_1) | instskip(NEXT) | instid1(VALU_DEP_1)
	v_fma_f64 v[34:35], -v[34:35], v[40:41], v[38:39]
	v_div_fmas_f64 v[34:35], v[34:35], v[36:37], v[40:41]
	v_div_scale_f64 v[36:37], null, v[20:21], v[20:21], v[22:23]
	s_delay_alu instid0(VALU_DEP_2) | instskip(NEXT) | instid1(VALU_DEP_2)
	v_div_fixup_f64 v[18:19], v[34:35], v[20:21], v[18:19]
	v_rcp_f64_e32 v[38:39], v[36:37]
	v_mul_f64 v[34:35], v[14:15], v[16:17]
	v_mul_f64 v[14:15], v[20:21], v[14:15]
	s_waitcnt_depctr 0xfff
	v_fma_f64 v[40:41], -v[36:37], v[38:39], 1.0
	s_delay_alu instid0(VALU_DEP_1) | instskip(NEXT) | instid1(VALU_DEP_1)
	v_fma_f64 v[38:39], v[38:39], v[40:41], v[38:39]
	v_fma_f64 v[40:41], -v[36:37], v[38:39], 1.0
	s_delay_alu instid0(VALU_DEP_1) | instskip(SKIP_1) | instid1(VALU_DEP_1)
	v_fma_f64 v[38:39], v[38:39], v[40:41], v[38:39]
	v_div_scale_f64 v[40:41], vcc_lo, v[22:23], v[20:21], v[22:23]
	v_mul_f64 v[42:43], v[40:41], v[38:39]
	s_delay_alu instid0(VALU_DEP_1) | instskip(NEXT) | instid1(VALU_DEP_1)
	v_fma_f64 v[36:37], -v[36:37], v[42:43], v[40:41]
	v_div_fmas_f64 v[36:37], v[36:37], v[38:39], v[42:43]
	s_delay_alu instid0(VALU_DEP_1) | instskip(NEXT) | instid1(VALU_DEP_1)
	v_div_fixup_f64 v[22:23], v[36:37], v[20:21], v[22:23]
	v_fma_f64 v[16:17], v[16:17], v[16:17], v[22:23]
	v_mul_f64 v[22:23], v[20:21], v[30:31]
	v_mul_f64 v[20:21], v[0:1], v[2:3]
	s_delay_alu instid0(VALU_DEP_2) | instskip(NEXT) | instid1(VALU_DEP_1)
	v_mul_f64 v[22:23], v[50:51], v[22:23]
	v_mul_f64 v[22:23], v[50:51], v[22:23]
	s_delay_alu instid0(VALU_DEP_1) | instskip(NEXT) | instid1(VALU_DEP_1)
	v_fma_f64 v[16:17], v[32:33], v[16:17], v[22:23]
	v_cmp_gt_f64_e32 vcc_lo, 0x10000000, v[16:17]
	s_mov_b32 vcc_hi, 0x3fd33333
	v_cndmask_b32_e64 v22, 0, 1, vcc_lo
	s_delay_alu instid0(VALU_DEP_1) | instskip(NEXT) | instid1(VALU_DEP_1)
	v_lshlrev_b32_e32 v22, 8, v22
	v_ldexp_f64 v[16:17], v[16:17], v22
	s_delay_alu instid0(VALU_DEP_1) | instskip(SKIP_3) | instid1(VALU_DEP_1)
	v_rsq_f64_e32 v[22:23], v[16:17]
	s_waitcnt_depctr 0xfff
	v_mul_f64 v[36:37], v[16:17], v[22:23]
	v_mul_f64 v[22:23], v[22:23], 0.5
	v_fma_f64 v[38:39], -v[22:23], v[36:37], 0.5
	s_delay_alu instid0(VALU_DEP_1) | instskip(SKIP_1) | instid1(VALU_DEP_2)
	v_fma_f64 v[36:37], v[36:37], v[38:39], v[36:37]
	v_fma_f64 v[22:23], v[22:23], v[38:39], v[22:23]
	v_fma_f64 v[40:41], -v[36:37], v[36:37], v[16:17]
	s_delay_alu instid0(VALU_DEP_1) | instskip(NEXT) | instid1(VALU_DEP_1)
	v_fma_f64 v[36:37], v[40:41], v[22:23], v[36:37]
	v_fma_f64 v[38:39], -v[36:37], v[36:37], v[16:17]
	s_delay_alu instid0(VALU_DEP_1) | instskip(SKIP_2) | instid1(VALU_DEP_2)
	v_fma_f64 v[22:23], v[38:39], v[22:23], v[36:37]
	v_cndmask_b32_e64 v36, 0, 0xffffff80, vcc_lo
	v_cmp_class_f64_e64 vcc_lo, v[16:17], 0x260
	v_ldexp_f64 v[22:23], v[22:23], v36
	s_delay_alu instid0(VALU_DEP_1) | instskip(NEXT) | instid1(VALU_DEP_1)
	v_dual_cndmask_b32 v23, v23, v17 :: v_dual_cndmask_b32 v22, v22, v16
	v_div_scale_f64 v[16:17], null, v[22:23], v[22:23], v[18:19]
	v_mul_f64 v[20:21], v[20:21], v[22:23]
	s_delay_alu instid0(VALU_DEP_2) | instskip(NEXT) | instid1(VALU_DEP_1)
	v_rcp_f64_e32 v[36:37], v[16:17]
	v_fma_f64 v[14:15], v[14:15], v[50:51], -v[20:21]
	s_waitcnt_depctr 0xfff
	v_fma_f64 v[38:39], -v[16:17], v[36:37], 1.0
	v_mul_f64 v[14:15], v[30:31], v[14:15]
	s_delay_alu instid0(VALU_DEP_2) | instskip(NEXT) | instid1(VALU_DEP_2)
	v_fma_f64 v[36:37], v[36:37], v[38:39], v[36:37]
	v_div_scale_f64 v[20:21], null, v[32:33], v[32:33], v[14:15]
	s_delay_alu instid0(VALU_DEP_2) | instskip(NEXT) | instid1(VALU_DEP_1)
	v_fma_f64 v[38:39], -v[16:17], v[36:37], 1.0
	v_fma_f64 v[36:37], v[36:37], v[38:39], v[36:37]
	v_div_scale_f64 v[38:39], vcc_lo, v[18:19], v[22:23], v[18:19]
	s_delay_alu instid0(VALU_DEP_1) | instskip(NEXT) | instid1(VALU_DEP_1)
	v_mul_f64 v[40:41], v[38:39], v[36:37]
	v_fma_f64 v[16:17], -v[16:17], v[40:41], v[38:39]
	s_delay_alu instid0(VALU_DEP_1) | instskip(NEXT) | instid1(VALU_DEP_1)
	v_div_fmas_f64 v[16:17], v[16:17], v[36:37], v[40:41]
	v_div_fixup_f64 v[16:17], v[16:17], v[22:23], v[18:19]
	v_div_scale_f64 v[18:19], null, v[22:23], v[22:23], v[34:35]
	s_delay_alu instid0(VALU_DEP_1) | instskip(SKIP_2) | instid1(VALU_DEP_1)
	v_rcp_f64_e32 v[36:37], v[18:19]
	s_waitcnt_depctr 0xfff
	v_fma_f64 v[38:39], -v[18:19], v[36:37], 1.0
	v_fma_f64 v[36:37], v[36:37], v[38:39], v[36:37]
	s_delay_alu instid0(VALU_DEP_1) | instskip(NEXT) | instid1(VALU_DEP_1)
	v_fma_f64 v[38:39], -v[18:19], v[36:37], 1.0
	v_fma_f64 v[36:37], v[36:37], v[38:39], v[36:37]
	v_div_scale_f64 v[38:39], vcc_lo, v[34:35], v[22:23], v[34:35]
	s_delay_alu instid0(VALU_DEP_1) | instskip(NEXT) | instid1(VALU_DEP_1)
	v_mul_f64 v[40:41], v[38:39], v[36:37]
	v_fma_f64 v[18:19], -v[18:19], v[40:41], v[38:39]
	s_delay_alu instid0(VALU_DEP_1) | instskip(NEXT) | instid1(VALU_DEP_1)
	v_div_fmas_f64 v[18:19], v[18:19], v[36:37], v[40:41]
	v_div_fixup_f64 v[18:19], v[18:19], v[22:23], v[34:35]
	v_rcp_f64_e32 v[34:35], v[20:21]
	s_waitcnt_depctr 0xfff
	v_fma_f64 v[36:37], -v[20:21], v[34:35], 1.0
	s_delay_alu instid0(VALU_DEP_1) | instskip(NEXT) | instid1(VALU_DEP_1)
	v_fma_f64 v[34:35], v[34:35], v[36:37], v[34:35]
	v_fma_f64 v[36:37], -v[20:21], v[34:35], 1.0
	s_delay_alu instid0(VALU_DEP_1) | instskip(SKIP_1) | instid1(VALU_DEP_1)
	v_fma_f64 v[34:35], v[34:35], v[36:37], v[34:35]
	v_div_scale_f64 v[36:37], vcc_lo, v[14:15], v[32:33], v[14:15]
	v_mul_f64 v[38:39], v[36:37], v[34:35]
	s_delay_alu instid0(VALU_DEP_1) | instskip(NEXT) | instid1(VALU_DEP_1)
	v_fma_f64 v[20:21], -v[20:21], v[38:39], v[36:37]
	v_div_fmas_f64 v[20:21], v[20:21], v[34:35], v[38:39]
	s_delay_alu instid0(VALU_DEP_1) | instskip(NEXT) | instid1(VALU_DEP_1)
	v_div_fixup_f64 v[14:15], v[20:21], v[32:33], v[14:15]
	v_div_scale_f64 v[20:21], null, v[22:23], v[22:23], v[14:15]
	s_delay_alu instid0(VALU_DEP_1) | instskip(SKIP_2) | instid1(VALU_DEP_1)
	v_rcp_f64_e32 v[32:33], v[20:21]
	s_waitcnt_depctr 0xfff
	v_fma_f64 v[34:35], -v[20:21], v[32:33], 1.0
	v_fma_f64 v[32:33], v[32:33], v[34:35], v[32:33]
	s_delay_alu instid0(VALU_DEP_1) | instskip(NEXT) | instid1(VALU_DEP_1)
	v_fma_f64 v[34:35], -v[20:21], v[32:33], 1.0
	v_fma_f64 v[32:33], v[32:33], v[34:35], v[32:33]
	v_div_scale_f64 v[34:35], vcc_lo, v[14:15], v[22:23], v[14:15]
	s_delay_alu instid0(VALU_DEP_1) | instskip(NEXT) | instid1(VALU_DEP_1)
	v_mul_f64 v[36:37], v[34:35], v[32:33]
	v_fma_f64 v[20:21], -v[20:21], v[36:37], v[34:35]
	s_delay_alu instid0(VALU_DEP_1) | instskip(NEXT) | instid1(VALU_DEP_1)
	v_div_fmas_f64 v[20:21], v[20:21], v[32:33], v[36:37]
	v_div_fixup_f64 v[14:15], v[20:21], v[22:23], v[14:15]
	v_mul_f64 v[20:21], v[18:19], v[18:19]
	s_delay_alu instid0(VALU_DEP_1) | instskip(NEXT) | instid1(VALU_DEP_3)
	v_fma_f64 v[22:23], v[6:7], v[30:31], v[20:21]
	v_mul_f64 v[20:21], v[14:15], v[14:15]
	s_delay_alu instid0(VALU_DEP_1) | instskip(NEXT) | instid1(VALU_DEP_1)
	v_div_scale_f64 v[32:33], null, v[30:31], v[30:31], v[20:21]
	v_rcp_f64_e32 v[34:35], v[32:33]
	s_waitcnt_depctr 0xfff
	v_fma_f64 v[36:37], -v[32:33], v[34:35], 1.0
	s_delay_alu instid0(VALU_DEP_1) | instskip(NEXT) | instid1(VALU_DEP_1)
	v_fma_f64 v[34:35], v[34:35], v[36:37], v[34:35]
	v_fma_f64 v[36:37], -v[32:33], v[34:35], 1.0
	s_delay_alu instid0(VALU_DEP_1) | instskip(SKIP_1) | instid1(VALU_DEP_1)
	v_fma_f64 v[34:35], v[34:35], v[36:37], v[34:35]
	v_div_scale_f64 v[36:37], vcc_lo, v[20:21], v[30:31], v[20:21]
	v_mul_f64 v[38:39], v[36:37], v[34:35]
	s_delay_alu instid0(VALU_DEP_1) | instskip(NEXT) | instid1(VALU_DEP_1)
	v_fma_f64 v[32:33], -v[32:33], v[38:39], v[36:37]
	v_div_fmas_f64 v[32:33], v[32:33], v[34:35], v[38:39]
	s_delay_alu instid0(VALU_DEP_1) | instskip(NEXT) | instid1(VALU_DEP_1)
	v_div_fixup_f64 v[30:31], v[32:33], v[30:31], v[20:21]
	v_add_f64 v[22:23], v[22:23], v[30:31]
	v_lshl_add_u32 v30, v24, 1, v24
	s_delay_alu instid0(VALU_DEP_1) | instskip(NEXT) | instid1(VALU_DEP_1)
	v_dual_mov_b32 v24, 0 :: v_dual_add_nc_u32 v25, 2, v30
	v_mov_b32_e32 v31, v24
	s_delay_alu instid0(VALU_DEP_1) | instskip(SKIP_1) | instid1(VALU_DEP_1)
	v_lshlrev_b64 v[31:32], 3, v[30:31]
	s_waitcnt lgkmcnt(0)
	v_add_co_u32 v31, vcc_lo, s36, v31
	s_delay_alu instid0(VALU_DEP_2) | instskip(SKIP_4) | instid1(VALU_DEP_3)
	v_add_co_ci_u32_e32 v32, vcc_lo, s37, v32, vcc_lo
	global_store_b64 v[31:32], v[28:29], off
	v_dual_mov_b32 v29, v24 :: v_dual_add_nc_u32 v28, 1, v30
	v_mov_b32_e32 v30, 0
	v_mov_b32_e32 v31, 0
	v_lshlrev_b64 v[28:29], 3, v[28:29]
	s_delay_alu instid0(VALU_DEP_1) | instskip(NEXT) | instid1(VALU_DEP_2)
	v_add_co_u32 v28, vcc_lo, s36, v28
	v_add_co_ci_u32_e32 v29, vcc_lo, s37, v29, vcc_lo
	global_store_b64 v[28:29], v[26:27], off
	v_mul_f64 v[28:29], v[0:1], v[14:15]
	v_mov_b32_e32 v26, v24
	s_delay_alu instid0(VALU_DEP_1) | instskip(SKIP_1) | instid1(VALU_DEP_2)
	v_lshlrev_b64 v[26:27], 3, v[25:26]
	v_mov_b32_e32 v25, v24
	v_add_co_u32 v26, vcc_lo, s36, v26
	s_delay_alu instid0(VALU_DEP_3)
	v_add_co_ci_u32_e32 v27, vcc_lo, s37, v27, vcc_lo
	s_mov_b32 s36, 0x9999999a
	s_mov_b32 s37, 0x3fc99999
	global_store_b64 v[26:27], v[24:25], off
	s_branch .LBB0_78
.LBB0_77:                               ;   in Loop: Header=BB0_78 Depth=1
	s_or_b32 exec_lo, exec_lo, s1
	s_delay_alu instid0(SALU_CYCLE_1) | instskip(SKIP_4) | instid1(SALU_CYCLE_1)
	s_and_b32 s0, exec_lo, s2
	v_dual_mov_b32 v4, v34 :: v_dual_mov_b32 v5, v35
	s_or_b32 s30, s0, s30
	s_and_not1_b32 s0, s31, exec_lo
	s_and_b32 s1, s33, exec_lo
	s_or_b32 s31, s0, s1
	s_and_not1_b32 exec_lo, exec_lo, s30
	s_cbranch_execz .LBB0_146
.LBB0_78:                               ; =>This Loop Header: Depth=1
                                        ;     Child Loop BB0_90 Depth 2
	v_cmp_ngt_f64_e64 s1, 0x41d00000, |v[4:5]|
	v_trig_preop_f64 v[40:41], |v[4:5]|, 0
	v_trig_preop_f64 v[38:39], |v[4:5]|, 1
	v_ldexp_f64 v[42:43], |v[4:5]|, 0xffffff80
	v_trig_preop_f64 v[34:35], |v[4:5]|, 2
	v_and_b32_e32 v49, 0x7fffffff, v5
                                        ; implicit-def: $vgpr48
                                        ; implicit-def: $vgpr32_vgpr33
                                        ; implicit-def: $vgpr36_vgpr37
	s_and_saveexec_b32 s0, s1
	s_delay_alu instid0(SALU_CYCLE_1)
	s_xor_b32 s28, exec_lo, s0
	s_cbranch_execz .LBB0_80
; %bb.79:                               ;   in Loop: Header=BB0_78 Depth=1
	v_cmp_le_f64_e64 vcc_lo, 0x7b000000, |v[4:5]|
	s_mov_b32 s2, s88
	s_mov_b32 s93, s91
	s_delay_alu instid0(VALU_DEP_4) | instskip(NEXT) | instid1(VALU_DEP_1)
	v_dual_cndmask_b32 v33, v49, v43 :: v_dual_cndmask_b32 v32, v4, v42
	v_mul_f64 v[36:37], v[40:41], v[32:33]
	v_mul_f64 v[44:45], v[38:39], v[32:33]
	s_delay_alu instid0(VALU_DEP_2) | instskip(NEXT) | instid1(VALU_DEP_1)
	v_fma_f64 v[46:47], v[40:41], v[32:33], -v[36:37]
	v_add_f64 v[50:51], v[44:45], v[46:47]
	s_delay_alu instid0(VALU_DEP_1) | instskip(NEXT) | instid1(VALU_DEP_1)
	v_add_f64 v[52:53], v[50:51], -v[44:45]
	v_add_f64 v[46:47], v[46:47], -v[52:53]
	;; [unrolled: 1-line block ×3, first 2 shown]
	s_delay_alu instid0(VALU_DEP_1) | instskip(SKIP_1) | instid1(VALU_DEP_2)
	v_add_f64 v[52:53], v[44:45], -v[52:53]
	v_fma_f64 v[44:45], v[38:39], v[32:33], -v[44:45]
	v_add_f64 v[46:47], v[46:47], v[52:53]
	v_mul_f64 v[52:53], v[34:35], v[32:33]
	s_delay_alu instid0(VALU_DEP_1) | instskip(SKIP_1) | instid1(VALU_DEP_2)
	v_add_f64 v[54:55], v[52:53], v[44:45]
	v_fma_f64 v[32:33], v[34:35], v[32:33], -v[52:53]
	v_add_f64 v[56:57], v[54:55], -v[52:53]
	s_delay_alu instid0(VALU_DEP_1) | instskip(SKIP_1) | instid1(VALU_DEP_1)
	v_add_f64 v[44:45], v[44:45], -v[56:57]
	v_add_f64 v[56:57], v[54:55], -v[56:57]
	;; [unrolled: 1-line block ×3, first 2 shown]
	s_delay_alu instid0(VALU_DEP_1) | instskip(SKIP_1) | instid1(VALU_DEP_1)
	v_add_f64 v[44:45], v[44:45], v[56:57]
	v_add_f64 v[56:57], v[54:55], v[46:47]
	v_add_f64 v[58:59], v[56:57], -v[54:55]
	s_delay_alu instid0(VALU_DEP_1) | instskip(SKIP_1) | instid1(VALU_DEP_1)
	v_add_f64 v[46:47], v[46:47], -v[58:59]
	v_add_f64 v[58:59], v[56:57], -v[58:59]
	;; [unrolled: 1-line block ×3, first 2 shown]
	v_add_f64 v[58:59], v[36:37], v[50:51]
	s_delay_alu instid0(VALU_DEP_2) | instskip(NEXT) | instid1(VALU_DEP_2)
	v_add_f64 v[46:47], v[46:47], v[54:55]
	v_add_f64 v[36:37], v[58:59], -v[36:37]
	v_ldexp_f64 v[58:59], v[58:59], -2
	s_delay_alu instid0(VALU_DEP_3) | instskip(NEXT) | instid1(VALU_DEP_3)
	v_add_f64 v[44:45], v[44:45], v[46:47]
	v_add_f64 v[36:37], v[50:51], -v[36:37]
	s_delay_alu instid0(VALU_DEP_3) | instskip(SKIP_1) | instid1(VALU_DEP_4)
	v_fract_f64_e32 v[60:61], v[58:59]
	v_cmp_neq_f64_e64 vcc_lo, 0x7ff00000, |v[58:59]|
	v_add_f64 v[32:33], v[32:33], v[44:45]
	s_delay_alu instid0(VALU_DEP_4) | instskip(NEXT) | instid1(VALU_DEP_4)
	v_add_f64 v[46:47], v[36:37], v[56:57]
	v_dual_cndmask_b32 v51, 0, v61 :: v_dual_cndmask_b32 v50, 0, v60
	s_delay_alu instid0(VALU_DEP_1) | instskip(NEXT) | instid1(VALU_DEP_3)
	v_ldexp_f64 v[44:45], v[50:51], 2
	v_add_f64 v[36:37], v[46:47], -v[36:37]
	s_delay_alu instid0(VALU_DEP_2) | instskip(NEXT) | instid1(VALU_DEP_2)
	v_add_f64 v[50:51], v[46:47], v[44:45]
	v_add_f64 v[36:37], v[56:57], -v[36:37]
	s_delay_alu instid0(VALU_DEP_2) | instskip(NEXT) | instid1(VALU_DEP_2)
	v_cmp_gt_f64_e32 vcc_lo, 0, v[50:51]
	v_add_f64 v[32:33], v[36:37], v[32:33]
	v_cndmask_b32_e64 v25, 0, 0x40100000, vcc_lo
	s_delay_alu instid0(VALU_DEP_1) | instskip(NEXT) | instid1(VALU_DEP_1)
	v_add_f64 v[44:45], v[44:45], v[24:25]
	v_add_f64 v[50:51], v[46:47], v[44:45]
	s_delay_alu instid0(VALU_DEP_1) | instskip(NEXT) | instid1(VALU_DEP_1)
	v_cvt_i32_f64_e32 v25, v[50:51]
	v_cvt_f64_i32_e32 v[50:51], v25
	s_delay_alu instid0(VALU_DEP_1) | instskip(NEXT) | instid1(VALU_DEP_1)
	v_add_f64 v[44:45], v[44:45], -v[50:51]
	v_add_f64 v[36:37], v[46:47], v[44:45]
	s_delay_alu instid0(VALU_DEP_1) | instskip(SKIP_1) | instid1(VALU_DEP_2)
	v_add_f64 v[44:45], v[36:37], -v[44:45]
	v_cmp_le_f64_e32 vcc_lo, 0.5, v[36:37]
	v_add_f64 v[44:45], v[46:47], -v[44:45]
	v_add_co_ci_u32_e64 v48, s0, 0, v25, vcc_lo
	v_cndmask_b32_e64 v25, 0, 0x3ff00000, vcc_lo
	s_delay_alu instid0(VALU_DEP_1) | instskip(NEXT) | instid1(VALU_DEP_4)
	v_add_f64 v[36:37], v[36:37], -v[24:25]
	v_add_f64 v[32:33], v[32:33], v[44:45]
	s_delay_alu instid0(VALU_DEP_1) | instskip(NEXT) | instid1(VALU_DEP_1)
	v_add_f64 v[44:45], v[36:37], v[32:33]
	v_add_f64 v[36:37], v[44:45], -v[36:37]
	s_delay_alu instid0(VALU_DEP_1) | instskip(SKIP_1) | instid1(VALU_DEP_1)
	v_add_f64 v[32:33], v[32:33], -v[36:37]
	v_mul_f64 v[36:37], v[44:45], s[2:3]
	v_fma_f64 v[46:47], v[44:45], s[2:3], -v[36:37]
	s_delay_alu instid0(VALU_DEP_1) | instskip(NEXT) | instid1(VALU_DEP_1)
	v_fma_f64 v[44:45], v[44:45], s[92:93], v[46:47]
	v_fma_f64 v[44:45], v[32:33], s[2:3], v[44:45]
	s_delay_alu instid0(VALU_DEP_1) | instskip(NEXT) | instid1(VALU_DEP_1)
	v_add_f64 v[32:33], v[36:37], v[44:45]
	v_add_f64 v[36:37], v[32:33], -v[36:37]
	s_delay_alu instid0(VALU_DEP_1)
	v_add_f64 v[36:37], v[44:45], -v[36:37]
	s_and_not1_saveexec_b32 s0, s28
	s_cbranch_execz .LBB0_82
	s_branch .LBB0_81
.LBB0_80:                               ;   in Loop: Header=BB0_78 Depth=1
	s_and_not1_saveexec_b32 s0, s28
	s_cbranch_execz .LBB0_82
.LBB0_81:                               ;   in Loop: Header=BB0_78 Depth=1
	v_mul_f64 v[32:33], |v[4:5]|, s[94:95]
	s_mov_b32 s90, s96
	s_delay_alu instid0(VALU_DEP_1) | instskip(NEXT) | instid1(VALU_DEP_1)
	v_rndne_f64_e32 v[44:45], v[32:33]
	v_fma_f64 v[32:33], v[44:45], s[88:89], |v[4:5]|
	v_mul_f64 v[36:37], v[44:45], s[96:97]
	v_cvt_i32_f64_e32 v48, v[44:45]
	s_delay_alu instid0(VALU_DEP_3) | instskip(NEXT) | instid1(VALU_DEP_3)
	v_fma_f64 v[50:51], v[44:45], s[96:97], v[32:33]
	v_add_f64 v[46:47], v[32:33], v[36:37]
	s_delay_alu instid0(VALU_DEP_1) | instskip(NEXT) | instid1(VALU_DEP_3)
	v_add_f64 v[32:33], v[32:33], -v[46:47]
	v_add_f64 v[46:47], v[46:47], -v[50:51]
	s_delay_alu instid0(VALU_DEP_2) | instskip(SKIP_1) | instid1(VALU_DEP_2)
	v_add_f64 v[32:33], v[32:33], v[36:37]
	v_fma_f64 v[36:37], v[44:45], s[90:91], v[36:37]
	v_add_f64 v[32:33], v[46:47], v[32:33]
	s_delay_alu instid0(VALU_DEP_1) | instskip(NEXT) | instid1(VALU_DEP_1)
	v_add_f64 v[32:33], v[32:33], -v[36:37]
	v_fma_f64 v[36:37], v[44:45], s[98:99], v[32:33]
	s_delay_alu instid0(VALU_DEP_1) | instskip(NEXT) | instid1(VALU_DEP_1)
	v_add_f64 v[32:33], v[50:51], v[36:37]
	v_add_f64 v[46:47], v[32:33], -v[50:51]
	s_delay_alu instid0(VALU_DEP_1)
	v_add_f64 v[36:37], v[36:37], -v[46:47]
.LBB0_82:                               ;   in Loop: Header=BB0_78 Depth=1
	s_or_b32 exec_lo, exec_lo, s0
                                        ; implicit-def: $vgpr50
                                        ; implicit-def: $vgpr44_vgpr45
                                        ; implicit-def: $vgpr46_vgpr47
	s_and_saveexec_b32 s0, s1
	s_delay_alu instid0(SALU_CYCLE_1)
	s_xor_b32 s1, exec_lo, s0
	s_cbranch_execz .LBB0_84
; %bb.83:                               ;   in Loop: Header=BB0_78 Depth=1
	v_cmp_le_f64_e64 vcc_lo, 0x7b000000, |v[4:5]|
	s_mov_b32 s2, s88
	s_mov_b32 s93, s91
	s_delay_alu instid0(VALU_DEP_4) | instskip(NEXT) | instid1(VALU_DEP_1)
	v_dual_cndmask_b32 v43, v49, v43 :: v_dual_cndmask_b32 v42, v4, v42
	v_mul_f64 v[44:45], v[40:41], v[42:43]
	v_mul_f64 v[46:47], v[38:39], v[42:43]
	;; [unrolled: 1-line block ×3, first 2 shown]
	s_delay_alu instid0(VALU_DEP_3) | instskip(NEXT) | instid1(VALU_DEP_3)
	v_fma_f64 v[40:41], v[40:41], v[42:43], -v[44:45]
	v_fma_f64 v[38:39], v[38:39], v[42:43], -v[46:47]
	s_delay_alu instid0(VALU_DEP_3) | instskip(NEXT) | instid1(VALU_DEP_3)
	v_fma_f64 v[34:35], v[34:35], v[42:43], -v[49:50]
	v_add_f64 v[51:52], v[46:47], v[40:41]
	s_delay_alu instid0(VALU_DEP_1) | instskip(NEXT) | instid1(VALU_DEP_1)
	v_add_f64 v[42:43], v[51:52], -v[46:47]
	v_add_f64 v[40:41], v[40:41], -v[42:43]
	;; [unrolled: 1-line block ×3, first 2 shown]
	s_delay_alu instid0(VALU_DEP_1) | instskip(SKIP_1) | instid1(VALU_DEP_2)
	v_add_f64 v[42:43], v[46:47], -v[42:43]
	v_add_f64 v[46:47], v[44:45], v[51:52]
	v_add_f64 v[40:41], v[40:41], v[42:43]
	s_delay_alu instid0(VALU_DEP_2) | instskip(SKIP_1) | instid1(VALU_DEP_2)
	v_add_f64 v[44:45], v[46:47], -v[44:45]
	v_ldexp_f64 v[46:47], v[46:47], -2
	v_add_f64 v[44:45], v[51:52], -v[44:45]
	v_add_f64 v[51:52], v[49:50], v[38:39]
	s_delay_alu instid0(VALU_DEP_3) | instskip(SKIP_1) | instid1(VALU_DEP_3)
	v_fract_f64_e32 v[42:43], v[46:47]
	v_cmp_neq_f64_e64 vcc_lo, 0x7ff00000, |v[46:47]|
	v_add_f64 v[46:47], v[51:52], -v[49:50]
	s_delay_alu instid0(VALU_DEP_3) | instskip(NEXT) | instid1(VALU_DEP_1)
	v_dual_cndmask_b32 v43, 0, v43 :: v_dual_cndmask_b32 v42, 0, v42
	v_ldexp_f64 v[42:43], v[42:43], 2
	s_delay_alu instid0(VALU_DEP_3) | instskip(SKIP_1) | instid1(VALU_DEP_1)
	v_add_f64 v[38:39], v[38:39], -v[46:47]
	v_add_f64 v[46:47], v[51:52], -v[46:47]
	;; [unrolled: 1-line block ×3, first 2 shown]
	v_add_f64 v[49:50], v[51:52], v[40:41]
	s_delay_alu instid0(VALU_DEP_2) | instskip(NEXT) | instid1(VALU_DEP_2)
	v_add_f64 v[38:39], v[38:39], v[46:47]
	v_add_f64 v[46:47], v[49:50], -v[51:52]
	s_delay_alu instid0(VALU_DEP_1) | instskip(SKIP_1) | instid1(VALU_DEP_1)
	v_add_f64 v[40:41], v[40:41], -v[46:47]
	v_add_f64 v[46:47], v[49:50], -v[46:47]
	;; [unrolled: 1-line block ×3, first 2 shown]
	v_add_f64 v[51:52], v[44:45], v[49:50]
	s_delay_alu instid0(VALU_DEP_2) | instskip(NEXT) | instid1(VALU_DEP_2)
	v_add_f64 v[40:41], v[40:41], v[46:47]
	v_add_f64 v[53:54], v[51:52], v[42:43]
	v_add_f64 v[44:45], v[51:52], -v[44:45]
	s_delay_alu instid0(VALU_DEP_3) | instskip(NEXT) | instid1(VALU_DEP_3)
	v_add_f64 v[38:39], v[38:39], v[40:41]
	v_cmp_gt_f64_e32 vcc_lo, 0, v[53:54]
	s_delay_alu instid0(VALU_DEP_3) | instskip(NEXT) | instid1(VALU_DEP_3)
	v_add_f64 v[44:45], v[49:50], -v[44:45]
	v_add_f64 v[34:35], v[34:35], v[38:39]
	v_cndmask_b32_e64 v25, 0, 0x40100000, vcc_lo
	s_delay_alu instid0(VALU_DEP_1) | instskip(NEXT) | instid1(VALU_DEP_3)
	v_add_f64 v[42:43], v[42:43], v[24:25]
	v_add_f64 v[34:35], v[44:45], v[34:35]
	s_delay_alu instid0(VALU_DEP_2) | instskip(NEXT) | instid1(VALU_DEP_1)
	v_add_f64 v[46:47], v[51:52], v[42:43]
	v_cvt_i32_f64_e32 v25, v[46:47]
	s_delay_alu instid0(VALU_DEP_1) | instskip(NEXT) | instid1(VALU_DEP_1)
	v_cvt_f64_i32_e32 v[46:47], v25
	v_add_f64 v[42:43], v[42:43], -v[46:47]
	s_delay_alu instid0(VALU_DEP_1) | instskip(NEXT) | instid1(VALU_DEP_1)
	v_add_f64 v[40:41], v[51:52], v[42:43]
	v_add_f64 v[38:39], v[40:41], -v[42:43]
	v_cmp_le_f64_e32 vcc_lo, 0.5, v[40:41]
	s_delay_alu instid0(VALU_DEP_2) | instskip(SKIP_2) | instid1(VALU_DEP_3)
	v_add_f64 v[38:39], v[51:52], -v[38:39]
	v_add_co_ci_u32_e64 v50, s0, 0, v25, vcc_lo
	v_cndmask_b32_e64 v25, 0, 0x3ff00000, vcc_lo
	v_add_f64 v[34:35], v[34:35], v[38:39]
	s_delay_alu instid0(VALU_DEP_2) | instskip(NEXT) | instid1(VALU_DEP_1)
	v_add_f64 v[38:39], v[40:41], -v[24:25]
	v_add_f64 v[40:41], v[38:39], v[34:35]
	s_delay_alu instid0(VALU_DEP_1) | instskip(SKIP_1) | instid1(VALU_DEP_2)
	v_mul_f64 v[42:43], v[40:41], s[2:3]
	v_add_f64 v[38:39], v[40:41], -v[38:39]
	v_fma_f64 v[44:45], v[40:41], s[2:3], -v[42:43]
	s_delay_alu instid0(VALU_DEP_2) | instskip(NEXT) | instid1(VALU_DEP_2)
	v_add_f64 v[34:35], v[34:35], -v[38:39]
	v_fma_f64 v[38:39], v[40:41], s[92:93], v[44:45]
	s_delay_alu instid0(VALU_DEP_1) | instskip(NEXT) | instid1(VALU_DEP_1)
	v_fma_f64 v[34:35], v[34:35], s[2:3], v[38:39]
	v_add_f64 v[44:45], v[42:43], v[34:35]
	s_delay_alu instid0(VALU_DEP_1) | instskip(NEXT) | instid1(VALU_DEP_1)
	v_add_f64 v[38:39], v[44:45], -v[42:43]
	v_add_f64 v[46:47], v[34:35], -v[38:39]
	s_and_not1_saveexec_b32 s0, s1
	s_cbranch_execnz .LBB0_85
	s_branch .LBB0_86
.LBB0_84:                               ;   in Loop: Header=BB0_78 Depth=1
	s_and_not1_saveexec_b32 s0, s1
	s_cbranch_execz .LBB0_86
.LBB0_85:                               ;   in Loop: Header=BB0_78 Depth=1
	v_mul_f64 v[34:35], |v[4:5]|, s[94:95]
	s_mov_b32 s90, s96
	s_delay_alu instid0(VALU_DEP_1) | instskip(NEXT) | instid1(VALU_DEP_1)
	v_rndne_f64_e32 v[34:35], v[34:35]
	v_fma_f64 v[38:39], v[34:35], s[88:89], |v[4:5]|
	v_mul_f64 v[40:41], v[34:35], s[96:97]
	v_cvt_i32_f64_e32 v50, v[34:35]
	s_delay_alu instid0(VALU_DEP_3) | instskip(NEXT) | instid1(VALU_DEP_3)
	v_fma_f64 v[46:47], v[34:35], s[96:97], v[38:39]
	v_add_f64 v[42:43], v[38:39], v[40:41]
	s_delay_alu instid0(VALU_DEP_1) | instskip(NEXT) | instid1(VALU_DEP_3)
	v_add_f64 v[38:39], v[38:39], -v[42:43]
	v_add_f64 v[42:43], v[42:43], -v[46:47]
	s_delay_alu instid0(VALU_DEP_2) | instskip(SKIP_1) | instid1(VALU_DEP_2)
	v_add_f64 v[38:39], v[38:39], v[40:41]
	v_fma_f64 v[40:41], v[34:35], s[90:91], v[40:41]
	v_add_f64 v[38:39], v[42:43], v[38:39]
	s_delay_alu instid0(VALU_DEP_1) | instskip(NEXT) | instid1(VALU_DEP_1)
	v_add_f64 v[38:39], v[38:39], -v[40:41]
	v_fma_f64 v[38:39], v[34:35], s[98:99], v[38:39]
	s_delay_alu instid0(VALU_DEP_1) | instskip(NEXT) | instid1(VALU_DEP_1)
	v_add_f64 v[44:45], v[46:47], v[38:39]
	v_add_f64 v[40:41], v[44:45], -v[46:47]
	s_delay_alu instid0(VALU_DEP_1)
	v_add_f64 v[46:47], v[38:39], -v[40:41]
.LBB0_86:                               ;   in Loop: Header=BB0_78 Depth=1
	s_or_b32 exec_lo, exec_lo, s0
	v_mul_f64 v[34:35], v[32:33], v[32:33]
	s_delay_alu instid0(VALU_DEP_2) | instskip(NEXT) | instid1(VALU_DEP_3)
	v_mul_f64 v[51:52], v[36:37], 0.5
	v_mul_f64 v[57:58], v[46:47], 0.5
	s_mov_b32 s28, s16
	v_cmp_class_f64_e64 s0, v[4:5], 0x1f8
	s_mov_b32 s34, 0
	s_delay_alu instid0(VALU_DEP_4) | instskip(SKIP_1) | instid1(VALU_DEP_2)
	v_mul_f64 v[38:39], v[34:35], 0.5
	v_mul_f64 v[53:54], v[32:33], -v[34:35]
	v_add_f64 v[40:41], -v[38:39], 1.0
	s_delay_alu instid0(VALU_DEP_1) | instskip(NEXT) | instid1(VALU_DEP_1)
	v_add_f64 v[42:43], -v[40:41], 1.0
	v_add_f64 v[38:39], v[42:43], -v[38:39]
	v_fma_f64 v[42:43], v[34:35], s[20:21], s[18:19]
	s_delay_alu instid0(VALU_DEP_2) | instskip(NEXT) | instid1(VALU_DEP_2)
	v_fma_f64 v[38:39], v[32:33], -v[36:37], v[38:39]
	v_fma_f64 v[42:43], v[34:35], v[42:43], s[22:23]
	s_delay_alu instid0(VALU_DEP_1) | instskip(NEXT) | instid1(VALU_DEP_1)
	v_fma_f64 v[42:43], v[34:35], v[42:43], s[24:25]
	v_fma_f64 v[42:43], v[34:35], v[42:43], s[26:27]
	s_delay_alu instid0(VALU_DEP_1) | instskip(NEXT) | instid1(VALU_DEP_1)
	v_fma_f64 v[42:43], v[53:54], v[42:43], v[51:52]
	v_fma_f64 v[36:37], v[34:35], v[42:43], -v[36:37]
	v_fma_f64 v[42:43], v[34:35], s[6:7], s[4:5]
	s_delay_alu instid0(VALU_DEP_2) | instskip(NEXT) | instid1(VALU_DEP_2)
	v_fma_f64 v[36:37], v[53:54], s[28:29], v[36:37]
	v_fma_f64 v[42:43], v[34:35], v[42:43], s[10:11]
	s_delay_alu instid0(VALU_DEP_2) | instskip(NEXT) | instid1(VALU_DEP_2)
	v_add_f64 v[32:33], v[32:33], -v[36:37]
	v_fma_f64 v[42:43], v[34:35], v[42:43], s[12:13]
	s_delay_alu instid0(VALU_DEP_1) | instskip(NEXT) | instid1(VALU_DEP_1)
	v_fma_f64 v[42:43], v[34:35], v[42:43], s[14:15]
	v_fma_f64 v[42:43], v[34:35], v[42:43], s[16:17]
	v_mul_f64 v[34:35], v[34:35], v[34:35]
	s_delay_alu instid0(VALU_DEP_1) | instskip(SKIP_1) | instid1(VALU_DEP_2)
	v_fma_f64 v[34:35], v[34:35], v[42:43], v[38:39]
	v_mul_f64 v[38:39], v[44:45], v[44:45]
	v_add_f64 v[34:35], v[40:41], v[34:35]
	s_delay_alu instid0(VALU_DEP_2) | instskip(SKIP_2) | instid1(VALU_DEP_1)
	v_mul_f64 v[42:43], v[38:39], 0.5
	v_mul_f64 v[59:60], v[44:45], -v[38:39]
	v_and_b32_e32 v25, 1, v50
	v_cmp_eq_u32_e32 vcc_lo, 0, v25
	s_delay_alu instid0(VALU_DEP_4) | instskip(NEXT) | instid1(VALU_DEP_1)
	v_add_f64 v[51:52], -v[42:43], 1.0
	v_add_f64 v[55:56], -v[51:52], 1.0
	s_delay_alu instid0(VALU_DEP_1) | instskip(SKIP_1) | instid1(VALU_DEP_2)
	v_add_f64 v[42:43], v[55:56], -v[42:43]
	v_fma_f64 v[55:56], v[38:39], s[20:21], s[18:19]
	v_fma_f64 v[42:43], v[44:45], -v[46:47], v[42:43]
	s_delay_alu instid0(VALU_DEP_2) | instskip(NEXT) | instid1(VALU_DEP_1)
	v_fma_f64 v[55:56], v[38:39], v[55:56], s[22:23]
	v_fma_f64 v[55:56], v[38:39], v[55:56], s[24:25]
	s_delay_alu instid0(VALU_DEP_1) | instskip(NEXT) | instid1(VALU_DEP_1)
	v_fma_f64 v[55:56], v[38:39], v[55:56], s[26:27]
	v_fma_f64 v[55:56], v[59:60], v[55:56], v[57:58]
	s_delay_alu instid0(VALU_DEP_1) | instskip(SKIP_1) | instid1(VALU_DEP_1)
	v_fma_f64 v[46:47], v[38:39], v[55:56], -v[46:47]
	v_fma_f64 v[55:56], v[38:39], s[6:7], s[4:5]
	v_fma_f64 v[55:56], v[38:39], v[55:56], s[10:11]
	s_delay_alu instid0(VALU_DEP_1) | instskip(NEXT) | instid1(VALU_DEP_1)
	v_fma_f64 v[55:56], v[38:39], v[55:56], s[12:13]
	v_fma_f64 v[55:56], v[38:39], v[55:56], s[14:15]
	s_delay_alu instid0(VALU_DEP_1) | instskip(SKIP_1) | instid1(VALU_DEP_1)
	v_fma_f64 v[55:56], v[38:39], v[55:56], s[16:17]
	v_mul_f64 v[38:39], v[38:39], v[38:39]
	v_fma_f64 v[38:39], v[38:39], v[55:56], v[42:43]
	v_fma_f64 v[42:43], v[59:60], s[28:29], v[46:47]
	s_delay_alu instid0(VALU_DEP_2) | instskip(NEXT) | instid1(VALU_DEP_2)
	v_add_f64 v[38:39], v[51:52], v[38:39]
	v_add_f64 v[42:43], v[44:45], -v[42:43]
	v_add_f64 v[44:45], v[2:3], v[2:3]
	s_delay_alu instid0(VALU_DEP_2) | instskip(NEXT) | instid1(VALU_DEP_3)
	v_xor_b32_e32 v25, 0x80000000, v43
	v_cndmask_b32_e32 v38, v42, v38, vcc_lo
	s_delay_alu instid0(VALU_DEP_3) | instskip(NEXT) | instid1(VALU_DEP_3)
	v_fma_f64 v[46:47], v[2:3], v[2:3], -v[44:45]
	v_cndmask_b32_e32 v25, v25, v39, vcc_lo
	v_lshlrev_b32_e32 v39, 30, v50
	s_delay_alu instid0(VALU_DEP_4) | instskip(NEXT) | instid1(VALU_DEP_2)
	v_cndmask_b32_e64 v38, 0, v38, s0
	v_and_b32_e32 v39, 0x80000000, v39
	s_delay_alu instid0(VALU_DEP_1) | instskip(NEXT) | instid1(VALU_DEP_1)
	v_xor_b32_e32 v25, v25, v39
	v_cndmask_b32_e64 v39, 0x7ff80000, v25, s0
	v_and_b32_e32 v25, 1, v48
	s_delay_alu instid0(VALU_DEP_2) | instskip(SKIP_1) | instid1(VALU_DEP_2)
	v_mul_f64 v[42:43], v[38:39], v[38:39]
	v_add_f64 v[46:47], v[6:7], v[46:47]
	v_mul_f64 v[42:43], v[6:7], v[42:43]
	s_delay_alu instid0(VALU_DEP_1) | instskip(NEXT) | instid1(VALU_DEP_1)
	v_fma_f64 v[42:43], v[2:3], v[2:3], v[42:43]
	v_mul_f64 v[49:50], v[46:47], v[42:43]
	v_fma_f64 v[36:37], v[2:3], -2.0, v[42:43]
	s_delay_alu instid0(VALU_DEP_2) | instskip(NEXT) | instid1(VALU_DEP_2)
	v_div_scale_f64 v[51:52], null, v[49:50], v[49:50], 1.0
	v_mul_f64 v[36:37], v[14:15], v[36:37]
	s_delay_alu instid0(VALU_DEP_2) | instskip(SKIP_2) | instid1(VALU_DEP_1)
	v_rcp_f64_e32 v[55:56], v[51:52]
	s_waitcnt_depctr 0xfff
	v_fma_f64 v[57:58], -v[51:52], v[55:56], 1.0
	v_fma_f64 v[55:56], v[55:56], v[57:58], v[55:56]
	s_delay_alu instid0(VALU_DEP_1) | instskip(NEXT) | instid1(VALU_DEP_1)
	v_fma_f64 v[57:58], -v[51:52], v[55:56], 1.0
	v_fma_f64 v[55:56], v[55:56], v[57:58], v[55:56]
	v_div_scale_f64 v[57:58], vcc_lo, 1.0, v[49:50], 1.0
	s_delay_alu instid0(VALU_DEP_1) | instskip(NEXT) | instid1(VALU_DEP_1)
	v_mul_f64 v[59:60], v[57:58], v[55:56]
	v_fma_f64 v[51:52], -v[51:52], v[59:60], v[57:58]
	s_delay_alu instid0(VALU_DEP_1) | instskip(SKIP_1) | instid1(VALU_DEP_1)
	v_div_fmas_f64 v[51:52], v[51:52], v[55:56], v[59:60]
	v_div_scale_f64 v[55:56], null, v[42:43], v[42:43], 1.0
	v_rcp_f64_e32 v[57:58], v[55:56]
	s_waitcnt_depctr 0xfff
	v_fma_f64 v[59:60], -v[55:56], v[57:58], 1.0
	s_delay_alu instid0(VALU_DEP_1) | instskip(NEXT) | instid1(VALU_DEP_1)
	v_fma_f64 v[57:58], v[57:58], v[59:60], v[57:58]
	v_fma_f64 v[59:60], -v[55:56], v[57:58], 1.0
	s_delay_alu instid0(VALU_DEP_1) | instskip(SKIP_1) | instid1(VALU_DEP_1)
	v_fma_f64 v[57:58], v[57:58], v[59:60], v[57:58]
	v_div_scale_f64 v[59:60], vcc_lo, 1.0, v[42:43], 1.0
	v_mul_f64 v[61:62], v[59:60], v[57:58]
	s_delay_alu instid0(VALU_DEP_1) | instskip(NEXT) | instid1(VALU_DEP_1)
	v_fma_f64 v[55:56], -v[55:56], v[61:62], v[59:60]
	v_div_fmas_f64 v[55:56], v[55:56], v[57:58], v[61:62]
	v_cmp_eq_u32_e32 vcc_lo, 0, v25
	v_dual_cndmask_b32 v25, v34, v32 :: v_dual_cndmask_b32 v32, v35, v33
	v_lshlrev_b32_e32 v33, 30, v48
	v_div_fixup_f64 v[48:49], v[51:52], v[49:50], 1.0
	s_delay_alu instid0(VALU_DEP_2) | instskip(NEXT) | instid1(VALU_DEP_1)
	v_xor_b32_e32 v33, v33, v5
	v_and_b32_e32 v33, 0x80000000, v33
	s_delay_alu instid0(VALU_DEP_1) | instskip(SKIP_1) | instid1(VALU_DEP_2)
	v_xor_b32_e32 v33, v32, v33
	v_cndmask_b32_e64 v32, 0, v25, s0
	v_cndmask_b32_e64 v33, 0x7ff80000, v33, s0
	s_delay_alu instid0(VALU_DEP_1) | instskip(SKIP_1) | instid1(VALU_DEP_1)
	v_mul_f64 v[34:35], v[32:33], v[32:33]
	v_cmp_gt_f64_e64 s0, s[100:101], v[32:33]
	v_cndmask_b32_e64 v35, v35, 0x3c9cd2b2, s0
	s_delay_alu instid0(VALU_DEP_3) | instskip(SKIP_2) | instid1(VALU_DEP_3)
	v_cndmask_b32_e64 v34, v34, 0x97d889bc, s0
	v_cndmask_b32_e64 v33, v33, 0x3e45798e, s0
	;; [unrolled: 1-line block ×3, first 2 shown]
	v_div_scale_f64 v[40:41], null, v[34:35], v[34:35], v[36:37]
	s_delay_alu instid0(VALU_DEP_2) | instskip(NEXT) | instid1(VALU_DEP_2)
	v_mul_f64 v[32:33], -v[32:33], v[38:39]
	v_rcp_f64_e32 v[53:54], v[40:41]
	s_waitcnt_depctr 0xfff
	v_fma_f64 v[57:58], -v[40:41], v[53:54], 1.0
	s_delay_alu instid0(VALU_DEP_1) | instskip(NEXT) | instid1(VALU_DEP_1)
	v_fma_f64 v[53:54], v[53:54], v[57:58], v[53:54]
	v_fma_f64 v[57:58], -v[40:41], v[53:54], 1.0
	s_delay_alu instid0(VALU_DEP_1) | instskip(SKIP_1) | instid1(VALU_DEP_1)
	v_fma_f64 v[53:54], v[53:54], v[57:58], v[53:54]
	v_div_scale_f64 v[57:58], vcc_lo, v[36:37], v[34:35], v[36:37]
	v_mul_f64 v[59:60], v[57:58], v[53:54]
	s_delay_alu instid0(VALU_DEP_1) | instskip(NEXT) | instid1(VALU_DEP_1)
	v_fma_f64 v[40:41], -v[40:41], v[59:60], v[57:58]
	v_div_fmas_f64 v[40:41], v[40:41], v[53:54], v[59:60]
	v_mul_f64 v[53:54], v[34:35], v[34:35]
	s_delay_alu instid0(VALU_DEP_2) | instskip(NEXT) | instid1(VALU_DEP_2)
	v_div_fixup_f64 v[34:35], v[40:41], v[34:35], v[36:37]
	v_div_scale_f64 v[57:58], null, v[53:54], v[53:54], v[20:21]
	v_div_fixup_f64 v[36:37], v[55:56], v[42:43], 1.0
	v_fma_f64 v[40:41], v[2:3], v[2:3], v[6:7]
	v_add_f64 v[42:43], v[16:17], v[16:17]
	v_add_f64 v[55:56], v[2:3], -1.0
	v_fma_f64 v[34:35], s[8:9], v[44:45], v[34:35]
	v_rcp_f64_e32 v[59:60], v[57:58]
	s_delay_alu instid0(VALU_DEP_4) | instskip(NEXT) | instid1(VALU_DEP_4)
	v_mul_f64 v[40:41], v[44:45], v[40:41]
	v_mul_f64 v[42:43], v[16:17], v[42:43]
	s_waitcnt_depctr 0xfff
	v_fma_f64 v[61:62], -v[57:58], v[59:60], 1.0
	v_mul_f64 v[42:43], v[55:56], v[42:43]
	v_fma_f64 v[55:56], -v[22:23], v[55:56], v[40:41]
	s_delay_alu instid0(VALU_DEP_3) | instskip(NEXT) | instid1(VALU_DEP_3)
	v_fma_f64 v[59:60], v[59:60], v[61:62], v[59:60]
	v_mul_f64 v[42:43], v[42:43], v[36:37]
	s_delay_alu instid0(VALU_DEP_3) | instskip(NEXT) | instid1(VALU_DEP_3)
	v_add_f64 v[38:39], v[55:56], -v[28:29]
	v_fma_f64 v[61:62], -v[57:58], v[59:60], 1.0
	s_delay_alu instid0(VALU_DEP_2) | instskip(SKIP_1) | instid1(VALU_DEP_3)
	v_fma_f64 v[38:39], v[38:39], v[48:49], -v[42:43]
	v_mul_f64 v[42:43], v[48:49], -v[34:35]
	v_fma_f64 v[59:60], v[59:60], v[61:62], v[59:60]
	v_div_scale_f64 v[61:62], vcc_lo, v[20:21], v[53:54], v[20:21]
	s_delay_alu instid0(VALU_DEP_1) | instskip(NEXT) | instid1(VALU_DEP_1)
	v_mul_f64 v[63:64], v[61:62], v[59:60]
	v_fma_f64 v[57:58], -v[57:58], v[63:64], v[61:62]
	s_delay_alu instid0(VALU_DEP_1) | instskip(SKIP_1) | instid1(VALU_DEP_2)
	v_div_fmas_f64 v[57:58], v[57:58], v[59:60], v[63:64]
	v_mul_f64 v[59:60], s[8:9], v[44:45]
	v_div_fixup_f64 v[50:51], v[57:58], v[53:54], v[20:21]
	s_delay_alu instid0(VALU_DEP_2) | instskip(NEXT) | instid1(VALU_DEP_2)
	v_fma_f64 v[40:41], -v[14:15], v[59:60], v[40:41]
	v_add_f64 v[34:35], v[50:51], -v[6:7]
	s_delay_alu instid0(VALU_DEP_2) | instskip(NEXT) | instid1(VALU_DEP_2)
	v_fma_f64 v[40:41], v[40:41], v[48:49], 1.0
	v_mul_f64 v[34:35], v[34:35], v[32:33]
	v_mul_f64 v[32:33], v[46:47], -v[16:17]
	v_mul_f64 v[46:47], v[36:37], -v[18:19]
	s_delay_alu instid0(VALU_DEP_3) | instskip(NEXT) | instid1(VALU_DEP_3)
	v_mul_f64 v[44:45], v[34:35], v[36:37]
	v_mul_f64 v[32:33], v[32:33], v[36:37]
	s_delay_alu instid0(VALU_DEP_3) | instskip(SKIP_1) | instid1(VALU_DEP_3)
	v_mul_f64 v[48:49], v[80:81], v[46:47]
	v_mul_f64 v[34:35], v[80:81], -v[40:41]
	v_mul_f64 v[36:37], v[80:81], v[32:33]
	s_delay_alu instid0(VALU_DEP_3) | instskip(SKIP_1) | instid1(VALU_DEP_4)
	v_add_f64 v[50:51], |v[48:49]|, |v[4:5]|
	v_mul_f64 v[48:49], v[80:81], v[42:43]
	v_add_f64 v[34:35], |v[34:35]|, |v[30:31]|
	s_delay_alu instid0(VALU_DEP_4) | instskip(NEXT) | instid1(VALU_DEP_4)
	v_add_f64 v[36:37], |v[36:37]|, |v[2:3]|
	v_add_f64 v[50:51], v[50:51], s[102:103]
	s_delay_alu instid0(VALU_DEP_4) | instskip(SKIP_2) | instid1(VALU_DEP_3)
	v_add_f64 v[52:53], |v[48:49]|, |v[8:9]|
	v_mul_f64 v[48:49], v[80:81], -v[38:39]
	v_add_f64 v[54:55], v[34:35], s[102:103]
	v_add_f64 v[52:53], v[52:53], s[102:103]
	s_delay_alu instid0(VALU_DEP_3) | instskip(SKIP_1) | instid1(VALU_DEP_2)
	v_add_f64 v[56:57], |v[48:49]|, |v[16:17]|
	v_mul_f64 v[48:49], v[80:81], v[44:45]
	v_add_f64 v[56:57], v[56:57], s[102:103]
	s_delay_alu instid0(VALU_DEP_2) | instskip(SKIP_1) | instid1(VALU_DEP_2)
	v_add_f64 v[58:59], |v[48:49]|, |v[18:19]|
	v_add_f64 v[48:49], v[36:37], s[102:103]
	v_add_f64 v[58:59], v[58:59], s[102:103]
	s_branch .LBB0_90
.LBB0_87:                               ;   in Loop: Header=BB0_90 Depth=2
	s_or_b32 exec_lo, exec_lo, s2
.LBB0_88:                               ;   in Loop: Header=BB0_90 Depth=2
	s_delay_alu instid0(SALU_CYCLE_1) | instskip(NEXT) | instid1(SALU_CYCLE_1)
	s_or_b32 exec_lo, exec_lo, s1
	s_xor_b32 s1, exec_lo, -1
.LBB0_89:                               ;   in Loop: Header=BB0_90 Depth=2
	s_or_b32 exec_lo, exec_lo, s0
	s_delay_alu instid0(SALU_CYCLE_1) | instskip(NEXT) | instid1(SALU_CYCLE_1)
	s_and_b32 s0, exec_lo, s1
	s_or_b32 s34, s0, s34
	s_delay_alu instid0(SALU_CYCLE_1)
	s_and_not1_b32 exec_lo, exec_lo, s34
	s_cbranch_execz .LBB0_138
.LBB0_90:                               ;   Parent Loop BB0_78 Depth=1
                                        ; =>  This Inner Loop Header: Depth=2
	v_dual_mov_b32 v36, v80 :: v_dual_mov_b32 v37, v81
                                        ; implicit-def: $vgpr100
                                        ; implicit-def: $vgpr65_vgpr66
                                        ; implicit-def: $vgpr76_vgpr77
	s_delay_alu instid0(VALU_DEP_1) | instskip(NEXT) | instid1(VALU_DEP_1)
	v_mul_f64 v[34:35], v[46:47], v[36:37]
	v_fma_f64 v[63:64], v[34:35], s[36:37], v[4:5]
	s_delay_alu instid0(VALU_DEP_1)
	v_cmp_ngt_f64_e64 s1, 0x41d00000, |v[63:64]|
	v_trig_preop_f64 v[69:70], |v[63:64]|, 0
	v_trig_preop_f64 v[67:68], |v[63:64]|, 1
	v_ldexp_f64 v[71:72], |v[63:64]|, 0xffffff80
	v_trig_preop_f64 v[60:61], |v[63:64]|, 2
	v_and_b32_e32 v62, 0x7fffffff, v64
	s_and_saveexec_b32 s0, s1
	s_delay_alu instid0(SALU_CYCLE_1)
	s_xor_b32 s28, exec_lo, s0
	s_cbranch_execz .LBB0_92
; %bb.91:                               ;   in Loop: Header=BB0_90 Depth=2
	v_cmp_le_f64_e64 vcc_lo, 0x7b000000, |v[63:64]|
	s_mov_b32 s2, s88
	s_mov_b32 s93, s91
	s_delay_alu instid0(VALU_DEP_4) | instskip(NEXT) | instid1(VALU_DEP_1)
	v_dual_cndmask_b32 v66, v62, v72 :: v_dual_cndmask_b32 v65, v63, v71
	v_mul_f64 v[73:74], v[69:70], v[65:66]
	v_mul_f64 v[75:76], v[67:68], v[65:66]
	s_delay_alu instid0(VALU_DEP_2) | instskip(NEXT) | instid1(VALU_DEP_1)
	v_fma_f64 v[77:78], v[69:70], v[65:66], -v[73:74]
	v_add_f64 v[79:80], v[75:76], v[77:78]
	s_delay_alu instid0(VALU_DEP_1) | instskip(NEXT) | instid1(VALU_DEP_1)
	v_add_f64 v[81:82], v[79:80], -v[75:76]
	v_add_f64 v[77:78], v[77:78], -v[81:82]
	v_add_f64 v[81:82], v[79:80], -v[81:82]
	s_delay_alu instid0(VALU_DEP_1) | instskip(SKIP_1) | instid1(VALU_DEP_2)
	v_add_f64 v[81:82], v[75:76], -v[81:82]
	v_fma_f64 v[75:76], v[67:68], v[65:66], -v[75:76]
	v_add_f64 v[77:78], v[77:78], v[81:82]
	v_mul_f64 v[81:82], v[60:61], v[65:66]
	s_delay_alu instid0(VALU_DEP_1) | instskip(SKIP_1) | instid1(VALU_DEP_2)
	v_add_f64 v[83:84], v[81:82], v[75:76]
	v_fma_f64 v[65:66], v[60:61], v[65:66], -v[81:82]
	v_add_f64 v[85:86], v[83:84], -v[81:82]
	s_delay_alu instid0(VALU_DEP_1) | instskip(SKIP_1) | instid1(VALU_DEP_1)
	v_add_f64 v[75:76], v[75:76], -v[85:86]
	v_add_f64 v[85:86], v[83:84], -v[85:86]
	;; [unrolled: 1-line block ×3, first 2 shown]
	s_delay_alu instid0(VALU_DEP_1) | instskip(SKIP_1) | instid1(VALU_DEP_1)
	v_add_f64 v[75:76], v[75:76], v[85:86]
	v_add_f64 v[85:86], v[83:84], v[77:78]
	v_add_f64 v[87:88], v[85:86], -v[83:84]
	s_delay_alu instid0(VALU_DEP_1) | instskip(SKIP_1) | instid1(VALU_DEP_1)
	v_add_f64 v[77:78], v[77:78], -v[87:88]
	v_add_f64 v[87:88], v[85:86], -v[87:88]
	;; [unrolled: 1-line block ×3, first 2 shown]
	v_add_f64 v[87:88], v[73:74], v[79:80]
	s_delay_alu instid0(VALU_DEP_2) | instskip(NEXT) | instid1(VALU_DEP_2)
	v_add_f64 v[77:78], v[77:78], v[83:84]
	v_add_f64 v[73:74], v[87:88], -v[73:74]
	v_ldexp_f64 v[87:88], v[87:88], -2
	s_delay_alu instid0(VALU_DEP_3) | instskip(NEXT) | instid1(VALU_DEP_3)
	v_add_f64 v[75:76], v[75:76], v[77:78]
	v_add_f64 v[73:74], v[79:80], -v[73:74]
	s_delay_alu instid0(VALU_DEP_3) | instskip(SKIP_1) | instid1(VALU_DEP_4)
	v_fract_f64_e32 v[89:90], v[87:88]
	v_cmp_neq_f64_e64 vcc_lo, 0x7ff00000, |v[87:88]|
	v_add_f64 v[65:66], v[65:66], v[75:76]
	s_delay_alu instid0(VALU_DEP_4) | instskip(NEXT) | instid1(VALU_DEP_4)
	v_add_f64 v[77:78], v[73:74], v[85:86]
	v_dual_cndmask_b32 v80, 0, v90 :: v_dual_cndmask_b32 v79, 0, v89
	s_delay_alu instid0(VALU_DEP_1) | instskip(NEXT) | instid1(VALU_DEP_3)
	v_ldexp_f64 v[75:76], v[79:80], 2
	v_add_f64 v[73:74], v[77:78], -v[73:74]
	s_delay_alu instid0(VALU_DEP_2) | instskip(NEXT) | instid1(VALU_DEP_2)
	v_add_f64 v[79:80], v[77:78], v[75:76]
	v_add_f64 v[73:74], v[85:86], -v[73:74]
	s_delay_alu instid0(VALU_DEP_2) | instskip(NEXT) | instid1(VALU_DEP_2)
	v_cmp_gt_f64_e32 vcc_lo, 0, v[79:80]
	v_add_f64 v[65:66], v[73:74], v[65:66]
	v_cndmask_b32_e64 v25, 0, 0x40100000, vcc_lo
	s_delay_alu instid0(VALU_DEP_1) | instskip(NEXT) | instid1(VALU_DEP_1)
	v_add_f64 v[75:76], v[75:76], v[24:25]
	v_add_f64 v[79:80], v[77:78], v[75:76]
	s_delay_alu instid0(VALU_DEP_1) | instskip(NEXT) | instid1(VALU_DEP_1)
	v_cvt_i32_f64_e32 v25, v[79:80]
	v_cvt_f64_i32_e32 v[79:80], v25
	s_delay_alu instid0(VALU_DEP_1) | instskip(NEXT) | instid1(VALU_DEP_1)
	v_add_f64 v[75:76], v[75:76], -v[79:80]
	v_add_f64 v[73:74], v[77:78], v[75:76]
	s_delay_alu instid0(VALU_DEP_1) | instskip(SKIP_1) | instid1(VALU_DEP_2)
	v_add_f64 v[75:76], v[73:74], -v[75:76]
	v_cmp_le_f64_e32 vcc_lo, 0.5, v[73:74]
	v_add_f64 v[75:76], v[77:78], -v[75:76]
	v_add_co_ci_u32_e64 v100, s0, 0, v25, vcc_lo
	v_cndmask_b32_e64 v25, 0, 0x3ff00000, vcc_lo
	s_delay_alu instid0(VALU_DEP_1) | instskip(NEXT) | instid1(VALU_DEP_4)
	v_add_f64 v[73:74], v[73:74], -v[24:25]
	v_add_f64 v[65:66], v[65:66], v[75:76]
	s_delay_alu instid0(VALU_DEP_1) | instskip(NEXT) | instid1(VALU_DEP_1)
	v_add_f64 v[75:76], v[73:74], v[65:66]
	v_add_f64 v[73:74], v[75:76], -v[73:74]
	s_delay_alu instid0(VALU_DEP_1) | instskip(SKIP_1) | instid1(VALU_DEP_1)
	v_add_f64 v[65:66], v[65:66], -v[73:74]
	v_mul_f64 v[73:74], v[75:76], s[2:3]
	v_fma_f64 v[77:78], v[75:76], s[2:3], -v[73:74]
	s_delay_alu instid0(VALU_DEP_1) | instskip(NEXT) | instid1(VALU_DEP_1)
	v_fma_f64 v[75:76], v[75:76], s[92:93], v[77:78]
	v_fma_f64 v[75:76], v[65:66], s[2:3], v[75:76]
	s_delay_alu instid0(VALU_DEP_1) | instskip(NEXT) | instid1(VALU_DEP_1)
	v_add_f64 v[65:66], v[73:74], v[75:76]
	v_add_f64 v[73:74], v[65:66], -v[73:74]
	s_delay_alu instid0(VALU_DEP_1)
	v_add_f64 v[76:77], v[75:76], -v[73:74]
	s_and_not1_saveexec_b32 s0, s28
	s_cbranch_execz .LBB0_94
	s_branch .LBB0_93
.LBB0_92:                               ;   in Loop: Header=BB0_90 Depth=2
	s_and_not1_saveexec_b32 s0, s28
	s_cbranch_execz .LBB0_94
.LBB0_93:                               ;   in Loop: Header=BB0_90 Depth=2
	v_mul_f64 v[65:66], |v[63:64]|, s[94:95]
	s_mov_b32 s90, s96
	s_delay_alu instid0(VALU_DEP_1) | instskip(NEXT) | instid1(VALU_DEP_1)
	v_rndne_f64_e32 v[73:74], v[65:66]
	v_fma_f64 v[65:66], v[73:74], s[88:89], |v[63:64]|
	v_mul_f64 v[75:76], v[73:74], s[96:97]
	v_cvt_i32_f64_e32 v100, v[73:74]
	s_delay_alu instid0(VALU_DEP_3) | instskip(NEXT) | instid1(VALU_DEP_3)
	v_fma_f64 v[79:80], v[73:74], s[96:97], v[65:66]
	v_add_f64 v[77:78], v[65:66], v[75:76]
	s_delay_alu instid0(VALU_DEP_1) | instskip(NEXT) | instid1(VALU_DEP_3)
	v_add_f64 v[65:66], v[65:66], -v[77:78]
	v_add_f64 v[77:78], v[77:78], -v[79:80]
	s_delay_alu instid0(VALU_DEP_2) | instskip(SKIP_1) | instid1(VALU_DEP_2)
	v_add_f64 v[65:66], v[65:66], v[75:76]
	v_fma_f64 v[75:76], v[73:74], s[90:91], v[75:76]
	v_add_f64 v[65:66], v[77:78], v[65:66]
	s_delay_alu instid0(VALU_DEP_1) | instskip(NEXT) | instid1(VALU_DEP_1)
	v_add_f64 v[65:66], v[65:66], -v[75:76]
	v_fma_f64 v[75:76], v[73:74], s[98:99], v[65:66]
	s_delay_alu instid0(VALU_DEP_1) | instskip(NEXT) | instid1(VALU_DEP_1)
	v_add_f64 v[65:66], v[79:80], v[75:76]
	v_add_f64 v[77:78], v[65:66], -v[79:80]
	s_delay_alu instid0(VALU_DEP_1)
	v_add_f64 v[76:77], v[75:76], -v[77:78]
.LBB0_94:                               ;   in Loop: Header=BB0_90 Depth=2
	s_or_b32 exec_lo, exec_lo, s0
                                        ; implicit-def: $vgpr75
                                        ; implicit-def: $vgpr73_vgpr74
                                        ; implicit-def: $vgpr78_vgpr79
	s_and_saveexec_b32 s0, s1
	s_delay_alu instid0(SALU_CYCLE_1)
	s_xor_b32 s1, exec_lo, s0
	s_cbranch_execz .LBB0_96
; %bb.95:                               ;   in Loop: Header=BB0_90 Depth=2
	v_cmp_le_f64_e64 vcc_lo, 0x7b000000, |v[63:64]|
	s_mov_b32 s2, s88
	s_mov_b32 s93, s91
	s_delay_alu instid0(VALU_DEP_4) | instskip(NEXT) | instid1(VALU_DEP_1)
	v_dual_cndmask_b32 v72, v62, v72 :: v_dual_cndmask_b32 v71, v63, v71
	v_mul_f64 v[73:74], v[69:70], v[71:72]
	v_mul_f64 v[78:79], v[67:68], v[71:72]
	v_mul_f64 v[80:81], v[60:61], v[71:72]
	s_delay_alu instid0(VALU_DEP_3) | instskip(NEXT) | instid1(VALU_DEP_3)
	v_fma_f64 v[69:70], v[69:70], v[71:72], -v[73:74]
	v_fma_f64 v[67:68], v[67:68], v[71:72], -v[78:79]
	s_delay_alu instid0(VALU_DEP_3) | instskip(NEXT) | instid1(VALU_DEP_3)
	v_fma_f64 v[60:61], v[60:61], v[71:72], -v[80:81]
	v_add_f64 v[82:83], v[78:79], v[69:70]
	s_delay_alu instid0(VALU_DEP_1) | instskip(NEXT) | instid1(VALU_DEP_1)
	v_add_f64 v[71:72], v[82:83], -v[78:79]
	v_add_f64 v[69:70], v[69:70], -v[71:72]
	;; [unrolled: 1-line block ×3, first 2 shown]
	s_delay_alu instid0(VALU_DEP_1) | instskip(SKIP_1) | instid1(VALU_DEP_2)
	v_add_f64 v[71:72], v[78:79], -v[71:72]
	v_add_f64 v[78:79], v[73:74], v[82:83]
	v_add_f64 v[69:70], v[69:70], v[71:72]
	s_delay_alu instid0(VALU_DEP_2) | instskip(SKIP_1) | instid1(VALU_DEP_2)
	v_add_f64 v[73:74], v[78:79], -v[73:74]
	v_ldexp_f64 v[78:79], v[78:79], -2
	v_add_f64 v[73:74], v[82:83], -v[73:74]
	v_add_f64 v[82:83], v[80:81], v[67:68]
	s_delay_alu instid0(VALU_DEP_3) | instskip(SKIP_1) | instid1(VALU_DEP_3)
	v_fract_f64_e32 v[71:72], v[78:79]
	v_cmp_neq_f64_e64 vcc_lo, 0x7ff00000, |v[78:79]|
	v_add_f64 v[78:79], v[82:83], -v[80:81]
	s_delay_alu instid0(VALU_DEP_3) | instskip(NEXT) | instid1(VALU_DEP_1)
	v_dual_cndmask_b32 v72, 0, v72 :: v_dual_cndmask_b32 v71, 0, v71
	v_ldexp_f64 v[71:72], v[71:72], 2
	s_delay_alu instid0(VALU_DEP_3) | instskip(SKIP_1) | instid1(VALU_DEP_1)
	v_add_f64 v[67:68], v[67:68], -v[78:79]
	v_add_f64 v[78:79], v[82:83], -v[78:79]
	;; [unrolled: 1-line block ×3, first 2 shown]
	v_add_f64 v[80:81], v[82:83], v[69:70]
	s_delay_alu instid0(VALU_DEP_2) | instskip(NEXT) | instid1(VALU_DEP_2)
	v_add_f64 v[67:68], v[67:68], v[78:79]
	v_add_f64 v[78:79], v[80:81], -v[82:83]
	s_delay_alu instid0(VALU_DEP_1) | instskip(SKIP_1) | instid1(VALU_DEP_1)
	v_add_f64 v[69:70], v[69:70], -v[78:79]
	v_add_f64 v[78:79], v[80:81], -v[78:79]
	;; [unrolled: 1-line block ×3, first 2 shown]
	v_add_f64 v[82:83], v[73:74], v[80:81]
	s_delay_alu instid0(VALU_DEP_2) | instskip(NEXT) | instid1(VALU_DEP_2)
	v_add_f64 v[69:70], v[69:70], v[78:79]
	v_add_f64 v[84:85], v[82:83], v[71:72]
	v_add_f64 v[73:74], v[82:83], -v[73:74]
	s_delay_alu instid0(VALU_DEP_3) | instskip(NEXT) | instid1(VALU_DEP_3)
	v_add_f64 v[67:68], v[67:68], v[69:70]
	v_cmp_gt_f64_e32 vcc_lo, 0, v[84:85]
	s_delay_alu instid0(VALU_DEP_3) | instskip(NEXT) | instid1(VALU_DEP_3)
	v_add_f64 v[73:74], v[80:81], -v[73:74]
	v_add_f64 v[60:61], v[60:61], v[67:68]
	v_cndmask_b32_e64 v25, 0, 0x40100000, vcc_lo
	s_delay_alu instid0(VALU_DEP_1) | instskip(NEXT) | instid1(VALU_DEP_3)
	v_add_f64 v[71:72], v[71:72], v[24:25]
	v_add_f64 v[60:61], v[73:74], v[60:61]
	s_delay_alu instid0(VALU_DEP_2) | instskip(NEXT) | instid1(VALU_DEP_1)
	v_add_f64 v[78:79], v[82:83], v[71:72]
	v_cvt_i32_f64_e32 v25, v[78:79]
	s_delay_alu instid0(VALU_DEP_1) | instskip(NEXT) | instid1(VALU_DEP_1)
	v_cvt_f64_i32_e32 v[78:79], v25
	v_add_f64 v[71:72], v[71:72], -v[78:79]
	s_delay_alu instid0(VALU_DEP_1) | instskip(NEXT) | instid1(VALU_DEP_1)
	v_add_f64 v[69:70], v[82:83], v[71:72]
	v_add_f64 v[67:68], v[69:70], -v[71:72]
	v_cmp_le_f64_e32 vcc_lo, 0.5, v[69:70]
	s_delay_alu instid0(VALU_DEP_2) | instskip(SKIP_2) | instid1(VALU_DEP_3)
	v_add_f64 v[67:68], v[82:83], -v[67:68]
	v_add_co_ci_u32_e64 v75, s0, 0, v25, vcc_lo
	v_cndmask_b32_e64 v25, 0, 0x3ff00000, vcc_lo
	v_add_f64 v[60:61], v[60:61], v[67:68]
	s_delay_alu instid0(VALU_DEP_2) | instskip(NEXT) | instid1(VALU_DEP_1)
	v_add_f64 v[67:68], v[69:70], -v[24:25]
	v_add_f64 v[69:70], v[67:68], v[60:61]
	s_delay_alu instid0(VALU_DEP_1) | instskip(SKIP_1) | instid1(VALU_DEP_2)
	v_mul_f64 v[71:72], v[69:70], s[2:3]
	v_add_f64 v[67:68], v[69:70], -v[67:68]
	v_fma_f64 v[73:74], v[69:70], s[2:3], -v[71:72]
	s_delay_alu instid0(VALU_DEP_2) | instskip(NEXT) | instid1(VALU_DEP_2)
	v_add_f64 v[60:61], v[60:61], -v[67:68]
	v_fma_f64 v[67:68], v[69:70], s[92:93], v[73:74]
	s_delay_alu instid0(VALU_DEP_1) | instskip(NEXT) | instid1(VALU_DEP_1)
	v_fma_f64 v[60:61], v[60:61], s[2:3], v[67:68]
	v_add_f64 v[73:74], v[71:72], v[60:61]
	s_delay_alu instid0(VALU_DEP_1) | instskip(NEXT) | instid1(VALU_DEP_1)
	v_add_f64 v[67:68], v[73:74], -v[71:72]
	v_add_f64 v[78:79], v[60:61], -v[67:68]
	s_and_not1_saveexec_b32 s0, s1
	s_cbranch_execnz .LBB0_97
	s_branch .LBB0_98
.LBB0_96:                               ;   in Loop: Header=BB0_90 Depth=2
	s_and_not1_saveexec_b32 s0, s1
	s_cbranch_execz .LBB0_98
.LBB0_97:                               ;   in Loop: Header=BB0_90 Depth=2
	v_mul_f64 v[60:61], |v[63:64]|, s[94:95]
	s_mov_b32 s90, s96
	s_delay_alu instid0(VALU_DEP_1) | instskip(NEXT) | instid1(VALU_DEP_1)
	v_rndne_f64_e32 v[60:61], v[60:61]
	v_fma_f64 v[67:68], v[60:61], s[88:89], |v[63:64]|
	v_mul_f64 v[69:70], v[60:61], s[96:97]
	v_cvt_i32_f64_e32 v75, v[60:61]
	s_delay_alu instid0(VALU_DEP_3) | instskip(NEXT) | instid1(VALU_DEP_3)
	v_fma_f64 v[78:79], v[60:61], s[96:97], v[67:68]
	v_add_f64 v[71:72], v[67:68], v[69:70]
	s_delay_alu instid0(VALU_DEP_1) | instskip(NEXT) | instid1(VALU_DEP_3)
	v_add_f64 v[67:68], v[67:68], -v[71:72]
	v_add_f64 v[71:72], v[71:72], -v[78:79]
	s_delay_alu instid0(VALU_DEP_2) | instskip(SKIP_1) | instid1(VALU_DEP_2)
	v_add_f64 v[67:68], v[67:68], v[69:70]
	v_fma_f64 v[69:70], v[60:61], s[90:91], v[69:70]
	v_add_f64 v[67:68], v[71:72], v[67:68]
	s_delay_alu instid0(VALU_DEP_1) | instskip(NEXT) | instid1(VALU_DEP_1)
	v_add_f64 v[67:68], v[67:68], -v[69:70]
	v_fma_f64 v[67:68], v[60:61], s[98:99], v[67:68]
	s_delay_alu instid0(VALU_DEP_1) | instskip(NEXT) | instid1(VALU_DEP_1)
	v_add_f64 v[73:74], v[78:79], v[67:68]
	v_add_f64 v[69:70], v[73:74], -v[78:79]
	s_delay_alu instid0(VALU_DEP_1)
	v_add_f64 v[78:79], v[67:68], -v[69:70]
.LBB0_98:                               ;   in Loop: Header=BB0_90 Depth=2
	s_or_b32 exec_lo, exec_lo, s0
	v_mul_f64 v[60:61], v[73:74], v[73:74]
	s_delay_alu instid0(VALU_DEP_2) | instskip(SKIP_3) | instid1(VALU_DEP_4)
	v_mul_f64 v[80:81], v[78:79], 0.5
	s_mov_b32 s28, s16
	v_cmp_class_f64_e64 s0, v[63:64], 0x1f8
	v_mul_f64 v[62:63], v[32:33], v[36:37]
                                        ; implicit-def: $vgpr94_vgpr95
                                        ; implicit-def: $vgpr96_vgpr97
	v_mul_f64 v[67:68], v[60:61], 0.5
	v_mul_f64 v[82:83], v[73:74], -v[60:61]
	s_delay_alu instid0(VALU_DEP_2) | instskip(NEXT) | instid1(VALU_DEP_1)
	v_add_f64 v[69:70], -v[67:68], 1.0
	v_add_f64 v[71:72], -v[69:70], 1.0
	s_delay_alu instid0(VALU_DEP_1) | instskip(SKIP_1) | instid1(VALU_DEP_2)
	v_add_f64 v[67:68], v[71:72], -v[67:68]
	v_fma_f64 v[71:72], v[60:61], s[20:21], s[18:19]
	v_fma_f64 v[67:68], v[73:74], -v[78:79], v[67:68]
	s_delay_alu instid0(VALU_DEP_2) | instskip(NEXT) | instid1(VALU_DEP_1)
	v_fma_f64 v[71:72], v[60:61], v[71:72], s[22:23]
	v_fma_f64 v[71:72], v[60:61], v[71:72], s[24:25]
	s_delay_alu instid0(VALU_DEP_1) | instskip(NEXT) | instid1(VALU_DEP_1)
	v_fma_f64 v[71:72], v[60:61], v[71:72], s[26:27]
	v_fma_f64 v[71:72], v[82:83], v[71:72], v[80:81]
	s_delay_alu instid0(VALU_DEP_1) | instskip(SKIP_1) | instid1(VALU_DEP_1)
	v_fma_f64 v[71:72], v[60:61], v[71:72], -v[78:79]
	v_fma_f64 v[78:79], v[60:61], s[6:7], s[4:5]
	v_fma_f64 v[78:79], v[60:61], v[78:79], s[10:11]
	s_delay_alu instid0(VALU_DEP_1) | instskip(NEXT) | instid1(VALU_DEP_1)
	v_fma_f64 v[78:79], v[60:61], v[78:79], s[12:13]
	v_fma_f64 v[78:79], v[60:61], v[78:79], s[14:15]
	s_delay_alu instid0(VALU_DEP_1) | instskip(SKIP_1) | instid1(VALU_DEP_1)
	v_fma_f64 v[78:79], v[60:61], v[78:79], s[16:17]
	v_mul_f64 v[60:61], v[60:61], v[60:61]
	v_fma_f64 v[60:61], v[60:61], v[78:79], v[67:68]
	v_fma_f64 v[67:68], v[82:83], s[28:29], v[71:72]
	s_delay_alu instid0(VALU_DEP_2) | instskip(NEXT) | instid1(VALU_DEP_2)
	v_add_f64 v[60:61], v[69:70], v[60:61]
	v_add_f64 v[67:68], v[73:74], -v[67:68]
	v_fma_f64 v[69:70], v[62:63], s[36:37], v[2:3]
	v_and_b32_e32 v25, 1, v75
	s_delay_alu instid0(VALU_DEP_1) | instskip(NEXT) | instid1(VALU_DEP_4)
	v_cmp_eq_u32_e32 vcc_lo, 0, v25
	v_cndmask_b32_e32 v60, v67, v60, vcc_lo
	v_xor_b32_e32 v25, 0x80000000, v68
	v_mul_f64 v[86:87], v[69:70], v[69:70]
	s_delay_alu instid0(VALU_DEP_3) | instskip(NEXT) | instid1(VALU_DEP_3)
	v_cndmask_b32_e64 v82, 0, v60, s0
	v_cndmask_b32_e32 v25, v25, v61, vcc_lo
	v_lshlrev_b32_e32 v61, 30, v75
	s_delay_alu instid0(VALU_DEP_1) | instskip(NEXT) | instid1(VALU_DEP_1)
	v_and_b32_e32 v61, 0x80000000, v61
	v_xor_b32_e32 v25, v25, v61
	s_delay_alu instid0(VALU_DEP_1) | instskip(NEXT) | instid1(VALU_DEP_1)
	v_cndmask_b32_e64 v83, 0x7ff80000, v25, s0
	v_mul_f64 v[60:61], v[82:83], v[82:83]
	s_delay_alu instid0(VALU_DEP_1) | instskip(NEXT) | instid1(VALU_DEP_1)
	v_fma_f64 v[92:93], v[6:7], v[60:61], v[86:87]
	v_div_scale_f64 v[60:61], null, v[92:93], v[92:93], 1.0
	s_delay_alu instid0(VALU_DEP_1) | instskip(SKIP_2) | instid1(VALU_DEP_1)
	v_rcp_f64_e32 v[67:68], v[60:61]
	s_waitcnt_depctr 0xfff
	v_fma_f64 v[71:72], -v[60:61], v[67:68], 1.0
	v_fma_f64 v[67:68], v[67:68], v[71:72], v[67:68]
	s_delay_alu instid0(VALU_DEP_1) | instskip(NEXT) | instid1(VALU_DEP_1)
	v_fma_f64 v[71:72], -v[60:61], v[67:68], 1.0
	v_fma_f64 v[67:68], v[67:68], v[71:72], v[67:68]
	v_div_scale_f64 v[71:72], vcc_lo, 1.0, v[92:93], 1.0
	s_delay_alu instid0(VALU_DEP_1) | instskip(NEXT) | instid1(VALU_DEP_1)
	v_mul_f64 v[73:74], v[71:72], v[67:68]
	v_fma_f64 v[60:61], -v[60:61], v[73:74], v[71:72]
	s_delay_alu instid0(VALU_DEP_1) | instskip(NEXT) | instid1(VALU_DEP_1)
	v_div_fmas_f64 v[60:61], v[60:61], v[67:68], v[73:74]
                                        ; implicit-def: $vgpr73
	v_div_fixup_f64 v[71:72], v[60:61], v[92:93], 1.0
	v_mul_f64 v[60:61], v[44:45], v[36:37]
	s_delay_alu instid0(VALU_DEP_1) | instskip(NEXT) | instid1(VALU_DEP_1)
	v_fma_f64 v[67:68], v[60:61], s[36:37], v[18:19]
	v_mul_f64 v[67:68], v[71:72], -v[67:68]
	s_delay_alu instid0(VALU_DEP_1) | instskip(SKIP_1) | instid1(VALU_DEP_1)
	v_mul_f64 v[74:75], v[36:37], v[67:68]
	v_fma_f64 v[67:68], v[34:35], s[44:45], v[4:5]
	v_fma_f64 v[67:68], v[74:75], s[42:43], v[67:68]
	s_delay_alu instid0(VALU_DEP_1) | instskip(NEXT) | instid1(VALU_DEP_2)
	v_and_b32_e32 v102, 0x7fffffff, v68
	v_cmp_ngt_f64_e64 s28, 0x41d00000, |v[67:68]|
	v_trig_preop_f64 v[90:91], |v[67:68]|, 0
	v_trig_preop_f64 v[88:89], |v[67:68]|, 1
	v_ldexp_f64 v[98:99], |v[67:68]|, 0xffffff80
	v_trig_preop_f64 v[80:81], |v[67:68]|, 2
	s_and_saveexec_b32 s1, s28
	s_delay_alu instid0(SALU_CYCLE_1)
	s_xor_b32 s38, exec_lo, s1
	s_cbranch_execz .LBB0_100
; %bb.99:                               ;   in Loop: Header=BB0_90 Depth=2
	v_cmp_le_f64_e64 vcc_lo, 0x7b000000, |v[67:68]|
	s_mov_b32 s2, s88
	s_mov_b32 s93, s91
	s_delay_alu instid0(VALU_DEP_3) | instskip(NEXT) | instid1(VALU_DEP_1)
	v_dual_cndmask_b32 v79, v102, v99 :: v_dual_cndmask_b32 v78, v67, v98
	v_mul_f64 v[84:85], v[90:91], v[78:79]
	v_mul_f64 v[94:95], v[88:89], v[78:79]
	s_delay_alu instid0(VALU_DEP_2) | instskip(NEXT) | instid1(VALU_DEP_1)
	v_fma_f64 v[96:97], v[90:91], v[78:79], -v[84:85]
	v_add_f64 v[103:104], v[94:95], v[96:97]
	s_delay_alu instid0(VALU_DEP_1) | instskip(NEXT) | instid1(VALU_DEP_1)
	v_add_f64 v[105:106], v[103:104], -v[94:95]
	v_add_f64 v[96:97], v[96:97], -v[105:106]
	;; [unrolled: 1-line block ×3, first 2 shown]
	s_delay_alu instid0(VALU_DEP_1) | instskip(SKIP_1) | instid1(VALU_DEP_2)
	v_add_f64 v[105:106], v[94:95], -v[105:106]
	v_fma_f64 v[94:95], v[88:89], v[78:79], -v[94:95]
	v_add_f64 v[96:97], v[96:97], v[105:106]
	v_mul_f64 v[105:106], v[80:81], v[78:79]
	s_delay_alu instid0(VALU_DEP_1) | instskip(SKIP_1) | instid1(VALU_DEP_2)
	v_add_f64 v[107:108], v[105:106], v[94:95]
	v_fma_f64 v[78:79], v[80:81], v[78:79], -v[105:106]
	v_add_f64 v[109:110], v[107:108], -v[105:106]
	s_delay_alu instid0(VALU_DEP_1) | instskip(SKIP_1) | instid1(VALU_DEP_1)
	v_add_f64 v[94:95], v[94:95], -v[109:110]
	v_add_f64 v[109:110], v[107:108], -v[109:110]
	;; [unrolled: 1-line block ×3, first 2 shown]
	s_delay_alu instid0(VALU_DEP_1) | instskip(SKIP_1) | instid1(VALU_DEP_1)
	v_add_f64 v[94:95], v[94:95], v[109:110]
	v_add_f64 v[109:110], v[107:108], v[96:97]
	v_add_f64 v[111:112], v[109:110], -v[107:108]
	s_delay_alu instid0(VALU_DEP_1) | instskip(SKIP_1) | instid1(VALU_DEP_1)
	v_add_f64 v[96:97], v[96:97], -v[111:112]
	v_add_f64 v[111:112], v[109:110], -v[111:112]
	;; [unrolled: 1-line block ×3, first 2 shown]
	v_add_f64 v[111:112], v[84:85], v[103:104]
	s_delay_alu instid0(VALU_DEP_2) | instskip(NEXT) | instid1(VALU_DEP_2)
	v_add_f64 v[96:97], v[96:97], v[107:108]
	v_add_f64 v[84:85], v[111:112], -v[84:85]
	v_ldexp_f64 v[111:112], v[111:112], -2
	s_delay_alu instid0(VALU_DEP_3) | instskip(NEXT) | instid1(VALU_DEP_3)
	v_add_f64 v[94:95], v[94:95], v[96:97]
	v_add_f64 v[84:85], v[103:104], -v[84:85]
	s_delay_alu instid0(VALU_DEP_3) | instskip(SKIP_1) | instid1(VALU_DEP_4)
	v_fract_f64_e32 v[113:114], v[111:112]
	v_cmp_neq_f64_e64 vcc_lo, 0x7ff00000, |v[111:112]|
	v_add_f64 v[78:79], v[78:79], v[94:95]
	s_delay_alu instid0(VALU_DEP_4) | instskip(NEXT) | instid1(VALU_DEP_4)
	v_add_f64 v[96:97], v[84:85], v[109:110]
	v_dual_cndmask_b32 v104, 0, v114 :: v_dual_cndmask_b32 v103, 0, v113
	s_delay_alu instid0(VALU_DEP_1) | instskip(NEXT) | instid1(VALU_DEP_3)
	v_ldexp_f64 v[94:95], v[103:104], 2
	v_add_f64 v[84:85], v[96:97], -v[84:85]
	s_delay_alu instid0(VALU_DEP_2) | instskip(NEXT) | instid1(VALU_DEP_2)
	v_add_f64 v[103:104], v[96:97], v[94:95]
	v_add_f64 v[84:85], v[109:110], -v[84:85]
	s_delay_alu instid0(VALU_DEP_2) | instskip(NEXT) | instid1(VALU_DEP_2)
	v_cmp_gt_f64_e32 vcc_lo, 0, v[103:104]
	v_add_f64 v[78:79], v[84:85], v[78:79]
	v_cndmask_b32_e64 v25, 0, 0x40100000, vcc_lo
	s_delay_alu instid0(VALU_DEP_1) | instskip(NEXT) | instid1(VALU_DEP_1)
	v_add_f64 v[94:95], v[94:95], v[24:25]
	v_add_f64 v[103:104], v[96:97], v[94:95]
	s_delay_alu instid0(VALU_DEP_1) | instskip(NEXT) | instid1(VALU_DEP_1)
	v_cvt_i32_f64_e32 v25, v[103:104]
	v_cvt_f64_i32_e32 v[103:104], v25
	s_delay_alu instid0(VALU_DEP_1) | instskip(NEXT) | instid1(VALU_DEP_1)
	v_add_f64 v[94:95], v[94:95], -v[103:104]
	v_add_f64 v[84:85], v[96:97], v[94:95]
	s_delay_alu instid0(VALU_DEP_1) | instskip(SKIP_1) | instid1(VALU_DEP_2)
	v_add_f64 v[94:95], v[84:85], -v[94:95]
	v_cmp_le_f64_e32 vcc_lo, 0.5, v[84:85]
	v_add_f64 v[94:95], v[96:97], -v[94:95]
	v_add_co_ci_u32_e64 v73, s1, 0, v25, vcc_lo
	v_cndmask_b32_e64 v25, 0, 0x3ff00000, vcc_lo
	s_delay_alu instid0(VALU_DEP_1) | instskip(NEXT) | instid1(VALU_DEP_4)
	v_add_f64 v[84:85], v[84:85], -v[24:25]
	v_add_f64 v[78:79], v[78:79], v[94:95]
	s_delay_alu instid0(VALU_DEP_1) | instskip(NEXT) | instid1(VALU_DEP_1)
	v_add_f64 v[94:95], v[84:85], v[78:79]
	v_add_f64 v[84:85], v[94:95], -v[84:85]
	s_delay_alu instid0(VALU_DEP_1) | instskip(SKIP_1) | instid1(VALU_DEP_1)
	v_add_f64 v[78:79], v[78:79], -v[84:85]
	v_mul_f64 v[84:85], v[94:95], s[2:3]
	v_fma_f64 v[96:97], v[94:95], s[2:3], -v[84:85]
	s_delay_alu instid0(VALU_DEP_1) | instskip(NEXT) | instid1(VALU_DEP_1)
	v_fma_f64 v[94:95], v[94:95], s[92:93], v[96:97]
	v_fma_f64 v[78:79], v[78:79], s[2:3], v[94:95]
	s_delay_alu instid0(VALU_DEP_1) | instskip(NEXT) | instid1(VALU_DEP_1)
	v_add_f64 v[94:95], v[84:85], v[78:79]
	v_add_f64 v[84:85], v[94:95], -v[84:85]
	s_delay_alu instid0(VALU_DEP_1)
	v_add_f64 v[96:97], v[78:79], -v[84:85]
	s_and_not1_saveexec_b32 s1, s38
	s_cbranch_execz .LBB0_102
	s_branch .LBB0_101
.LBB0_100:                              ;   in Loop: Header=BB0_90 Depth=2
	s_and_not1_saveexec_b32 s1, s38
	s_cbranch_execz .LBB0_102
.LBB0_101:                              ;   in Loop: Header=BB0_90 Depth=2
	v_mul_f64 v[78:79], |v[67:68]|, s[94:95]
	s_mov_b32 s90, s96
	s_delay_alu instid0(VALU_DEP_1) | instskip(NEXT) | instid1(VALU_DEP_1)
	v_rndne_f64_e32 v[78:79], v[78:79]
	v_fma_f64 v[84:85], v[78:79], s[88:89], |v[67:68]|
	v_mul_f64 v[94:95], v[78:79], s[96:97]
	v_cvt_i32_f64_e32 v73, v[78:79]
	s_delay_alu instid0(VALU_DEP_3) | instskip(NEXT) | instid1(VALU_DEP_3)
	v_fma_f64 v[103:104], v[78:79], s[96:97], v[84:85]
	v_add_f64 v[96:97], v[84:85], v[94:95]
	s_delay_alu instid0(VALU_DEP_1) | instskip(NEXT) | instid1(VALU_DEP_3)
	v_add_f64 v[84:85], v[84:85], -v[96:97]
	v_add_f64 v[96:97], v[96:97], -v[103:104]
	s_delay_alu instid0(VALU_DEP_2) | instskip(SKIP_1) | instid1(VALU_DEP_2)
	v_add_f64 v[84:85], v[84:85], v[94:95]
	v_fma_f64 v[94:95], v[78:79], s[90:91], v[94:95]
	v_add_f64 v[84:85], v[96:97], v[84:85]
	s_delay_alu instid0(VALU_DEP_1) | instskip(NEXT) | instid1(VALU_DEP_1)
	v_add_f64 v[84:85], v[84:85], -v[94:95]
	v_fma_f64 v[84:85], v[78:79], s[98:99], v[84:85]
	s_delay_alu instid0(VALU_DEP_1) | instskip(NEXT) | instid1(VALU_DEP_1)
	v_add_f64 v[94:95], v[103:104], v[84:85]
	v_add_f64 v[96:97], v[94:95], -v[103:104]
	s_delay_alu instid0(VALU_DEP_1)
	v_add_f64 v[96:97], v[84:85], -v[96:97]
.LBB0_102:                              ;   in Loop: Header=BB0_90 Depth=2
	s_or_b32 exec_lo, exec_lo, s1
                                        ; implicit-def: $vgpr101
                                        ; implicit-def: $vgpr78_vgpr79
                                        ; implicit-def: $vgpr84_vgpr85
	s_and_saveexec_b32 s1, s28
	s_delay_alu instid0(SALU_CYCLE_1)
	s_xor_b32 s28, exec_lo, s1
	s_cbranch_execz .LBB0_104
; %bb.103:                              ;   in Loop: Header=BB0_90 Depth=2
	v_cmp_le_f64_e64 vcc_lo, 0x7b000000, |v[67:68]|
	s_mov_b32 s2, s88
	s_mov_b32 s93, s91
	s_delay_alu instid0(VALU_DEP_3) | instskip(NEXT) | instid1(VALU_DEP_1)
	v_dual_cndmask_b32 v79, v102, v99 :: v_dual_cndmask_b32 v78, v67, v98
	v_mul_f64 v[84:85], v[90:91], v[78:79]
	v_mul_f64 v[98:99], v[88:89], v[78:79]
	;; [unrolled: 1-line block ×3, first 2 shown]
	s_delay_alu instid0(VALU_DEP_3) | instskip(NEXT) | instid1(VALU_DEP_3)
	v_fma_f64 v[90:91], v[90:91], v[78:79], -v[84:85]
	v_fma_f64 v[88:89], v[88:89], v[78:79], -v[98:99]
	s_delay_alu instid0(VALU_DEP_3) | instskip(NEXT) | instid1(VALU_DEP_3)
	v_fma_f64 v[78:79], v[80:81], v[78:79], -v[101:102]
	v_add_f64 v[103:104], v[98:99], v[90:91]
	s_delay_alu instid0(VALU_DEP_1) | instskip(NEXT) | instid1(VALU_DEP_1)
	v_add_f64 v[80:81], v[103:104], -v[98:99]
	v_add_f64 v[90:91], v[90:91], -v[80:81]
	;; [unrolled: 1-line block ×3, first 2 shown]
	s_delay_alu instid0(VALU_DEP_1) | instskip(SKIP_1) | instid1(VALU_DEP_2)
	v_add_f64 v[80:81], v[98:99], -v[80:81]
	v_add_f64 v[98:99], v[84:85], v[103:104]
	v_add_f64 v[80:81], v[90:91], v[80:81]
	s_delay_alu instid0(VALU_DEP_2) | instskip(SKIP_1) | instid1(VALU_DEP_2)
	v_add_f64 v[84:85], v[98:99], -v[84:85]
	v_ldexp_f64 v[98:99], v[98:99], -2
	v_add_f64 v[84:85], v[103:104], -v[84:85]
	v_add_f64 v[103:104], v[101:102], v[88:89]
	s_delay_alu instid0(VALU_DEP_3) | instskip(SKIP_1) | instid1(VALU_DEP_3)
	v_fract_f64_e32 v[90:91], v[98:99]
	v_cmp_neq_f64_e64 vcc_lo, 0x7ff00000, |v[98:99]|
	v_add_f64 v[98:99], v[103:104], -v[101:102]
	s_delay_alu instid0(VALU_DEP_3) | instskip(NEXT) | instid1(VALU_DEP_1)
	v_dual_cndmask_b32 v91, 0, v91 :: v_dual_cndmask_b32 v90, 0, v90
	v_ldexp_f64 v[90:91], v[90:91], 2
	s_delay_alu instid0(VALU_DEP_3) | instskip(SKIP_1) | instid1(VALU_DEP_1)
	v_add_f64 v[88:89], v[88:89], -v[98:99]
	v_add_f64 v[98:99], v[103:104], -v[98:99]
	;; [unrolled: 1-line block ×3, first 2 shown]
	v_add_f64 v[101:102], v[103:104], v[80:81]
	s_delay_alu instid0(VALU_DEP_2) | instskip(NEXT) | instid1(VALU_DEP_2)
	v_add_f64 v[88:89], v[88:89], v[98:99]
	v_add_f64 v[98:99], v[101:102], -v[103:104]
	s_delay_alu instid0(VALU_DEP_1) | instskip(SKIP_1) | instid1(VALU_DEP_1)
	v_add_f64 v[80:81], v[80:81], -v[98:99]
	v_add_f64 v[98:99], v[101:102], -v[98:99]
	;; [unrolled: 1-line block ×3, first 2 shown]
	v_add_f64 v[103:104], v[84:85], v[101:102]
	s_delay_alu instid0(VALU_DEP_2) | instskip(NEXT) | instid1(VALU_DEP_2)
	v_add_f64 v[80:81], v[80:81], v[98:99]
	v_add_f64 v[105:106], v[103:104], v[90:91]
	v_add_f64 v[84:85], v[103:104], -v[84:85]
	s_delay_alu instid0(VALU_DEP_3) | instskip(NEXT) | instid1(VALU_DEP_3)
	v_add_f64 v[80:81], v[88:89], v[80:81]
	v_cmp_gt_f64_e32 vcc_lo, 0, v[105:106]
	s_delay_alu instid0(VALU_DEP_3) | instskip(NEXT) | instid1(VALU_DEP_3)
	v_add_f64 v[84:85], v[101:102], -v[84:85]
	v_add_f64 v[78:79], v[78:79], v[80:81]
	v_cndmask_b32_e64 v25, 0, 0x40100000, vcc_lo
	s_delay_alu instid0(VALU_DEP_1) | instskip(NEXT) | instid1(VALU_DEP_3)
	v_add_f64 v[90:91], v[90:91], v[24:25]
	v_add_f64 v[78:79], v[84:85], v[78:79]
	s_delay_alu instid0(VALU_DEP_2) | instskip(NEXT) | instid1(VALU_DEP_1)
	v_add_f64 v[98:99], v[103:104], v[90:91]
	v_cvt_i32_f64_e32 v25, v[98:99]
	s_delay_alu instid0(VALU_DEP_1) | instskip(NEXT) | instid1(VALU_DEP_1)
	v_cvt_f64_i32_e32 v[98:99], v25
	v_add_f64 v[90:91], v[90:91], -v[98:99]
	s_delay_alu instid0(VALU_DEP_1) | instskip(NEXT) | instid1(VALU_DEP_1)
	v_add_f64 v[88:89], v[103:104], v[90:91]
	v_add_f64 v[80:81], v[88:89], -v[90:91]
	v_cmp_le_f64_e32 vcc_lo, 0.5, v[88:89]
	s_delay_alu instid0(VALU_DEP_2) | instskip(SKIP_2) | instid1(VALU_DEP_3)
	v_add_f64 v[80:81], v[103:104], -v[80:81]
	v_add_co_ci_u32_e64 v101, s1, 0, v25, vcc_lo
	v_cndmask_b32_e64 v25, 0, 0x3ff00000, vcc_lo
	v_add_f64 v[78:79], v[78:79], v[80:81]
	s_delay_alu instid0(VALU_DEP_2) | instskip(NEXT) | instid1(VALU_DEP_1)
	v_add_f64 v[80:81], v[88:89], -v[24:25]
	v_add_f64 v[84:85], v[80:81], v[78:79]
	s_delay_alu instid0(VALU_DEP_1) | instskip(SKIP_1) | instid1(VALU_DEP_2)
	v_mul_f64 v[88:89], v[84:85], s[2:3]
	v_add_f64 v[80:81], v[84:85], -v[80:81]
	v_fma_f64 v[90:91], v[84:85], s[2:3], -v[88:89]
	s_delay_alu instid0(VALU_DEP_2) | instskip(NEXT) | instid1(VALU_DEP_2)
	v_add_f64 v[78:79], v[78:79], -v[80:81]
	v_fma_f64 v[80:81], v[84:85], s[92:93], v[90:91]
	s_delay_alu instid0(VALU_DEP_1) | instskip(NEXT) | instid1(VALU_DEP_1)
	v_fma_f64 v[80:81], v[78:79], s[2:3], v[80:81]
	v_add_f64 v[78:79], v[88:89], v[80:81]
	s_delay_alu instid0(VALU_DEP_1) | instskip(NEXT) | instid1(VALU_DEP_1)
	v_add_f64 v[84:85], v[78:79], -v[88:89]
	v_add_f64 v[84:85], v[80:81], -v[84:85]
	s_and_not1_saveexec_b32 s1, s28
	s_cbranch_execnz .LBB0_105
	s_branch .LBB0_106
.LBB0_104:                              ;   in Loop: Header=BB0_90 Depth=2
	s_and_not1_saveexec_b32 s1, s28
	s_cbranch_execz .LBB0_106
.LBB0_105:                              ;   in Loop: Header=BB0_90 Depth=2
	v_mul_f64 v[78:79], |v[67:68]|, s[94:95]
	s_mov_b32 s90, s96
	s_delay_alu instid0(VALU_DEP_1) | instskip(NEXT) | instid1(VALU_DEP_1)
	v_rndne_f64_e32 v[80:81], v[78:79]
	v_fma_f64 v[78:79], v[80:81], s[88:89], |v[67:68]|
	v_mul_f64 v[84:85], v[80:81], s[96:97]
	v_cvt_i32_f64_e32 v101, v[80:81]
	s_delay_alu instid0(VALU_DEP_3) | instskip(NEXT) | instid1(VALU_DEP_3)
	v_fma_f64 v[90:91], v[80:81], s[96:97], v[78:79]
	v_add_f64 v[88:89], v[78:79], v[84:85]
	s_delay_alu instid0(VALU_DEP_1) | instskip(NEXT) | instid1(VALU_DEP_3)
	v_add_f64 v[78:79], v[78:79], -v[88:89]
	v_add_f64 v[88:89], v[88:89], -v[90:91]
	s_delay_alu instid0(VALU_DEP_2) | instskip(SKIP_1) | instid1(VALU_DEP_2)
	v_add_f64 v[78:79], v[78:79], v[84:85]
	v_fma_f64 v[84:85], v[80:81], s[90:91], v[84:85]
	v_add_f64 v[78:79], v[88:89], v[78:79]
	s_delay_alu instid0(VALU_DEP_1) | instskip(NEXT) | instid1(VALU_DEP_1)
	v_add_f64 v[78:79], v[78:79], -v[84:85]
	v_fma_f64 v[84:85], v[80:81], s[98:99], v[78:79]
	s_delay_alu instid0(VALU_DEP_1) | instskip(NEXT) | instid1(VALU_DEP_1)
	v_add_f64 v[78:79], v[90:91], v[84:85]
	v_add_f64 v[88:89], v[78:79], -v[90:91]
	s_delay_alu instid0(VALU_DEP_1)
	v_add_f64 v[84:85], v[84:85], -v[88:89]
.LBB0_106:                              ;   in Loop: Header=BB0_90 Depth=2
	s_or_b32 exec_lo, exec_lo, s1
	v_mul_f64 v[80:81], v[65:66], v[65:66]
	v_mul_f64 v[102:103], v[76:77], 0.5
	s_mov_b32 s28, s16
	v_and_b32_e32 v25, 1, v100
	s_mov_b32 s40, s42
	s_mov_b32 s38, s44
                                        ; implicit-def: $vgpr131
	s_delay_alu instid0(VALU_DEP_1) | instskip(NEXT) | instid1(VALU_DEP_4)
	v_cmp_eq_u32_e32 vcc_lo, 0, v25
	v_mul_f64 v[88:89], v[80:81], 0.5
	v_mul_f64 v[104:105], v[65:66], -v[80:81]
	s_delay_alu instid0(VALU_DEP_2) | instskip(NEXT) | instid1(VALU_DEP_1)
	v_add_f64 v[90:91], -v[88:89], 1.0
	v_add_f64 v[98:99], -v[90:91], 1.0
	s_delay_alu instid0(VALU_DEP_1) | instskip(SKIP_1) | instid1(VALU_DEP_2)
	v_add_f64 v[88:89], v[98:99], -v[88:89]
	v_fma_f64 v[98:99], v[80:81], s[20:21], s[18:19]
	v_fma_f64 v[88:89], v[65:66], -v[76:77], v[88:89]
	s_delay_alu instid0(VALU_DEP_2) | instskip(NEXT) | instid1(VALU_DEP_1)
	v_fma_f64 v[98:99], v[80:81], v[98:99], s[22:23]
	v_fma_f64 v[98:99], v[80:81], v[98:99], s[24:25]
	s_delay_alu instid0(VALU_DEP_1) | instskip(NEXT) | instid1(VALU_DEP_1)
	v_fma_f64 v[98:99], v[80:81], v[98:99], s[26:27]
	v_fma_f64 v[98:99], v[104:105], v[98:99], v[102:103]
	s_delay_alu instid0(VALU_DEP_1) | instskip(SKIP_1) | instid1(VALU_DEP_2)
	v_fma_f64 v[76:77], v[80:81], v[98:99], -v[76:77]
	v_fma_f64 v[98:99], v[80:81], s[6:7], s[4:5]
	v_fma_f64 v[76:77], v[104:105], s[28:29], v[76:77]
	s_delay_alu instid0(VALU_DEP_2) | instskip(NEXT) | instid1(VALU_DEP_2)
	v_fma_f64 v[98:99], v[80:81], v[98:99], s[10:11]
	v_add_f64 v[65:66], v[65:66], -v[76:77]
	s_delay_alu instid0(VALU_DEP_2) | instskip(NEXT) | instid1(VALU_DEP_1)
	v_fma_f64 v[98:99], v[80:81], v[98:99], s[12:13]
	v_fma_f64 v[98:99], v[80:81], v[98:99], s[14:15]
	s_delay_alu instid0(VALU_DEP_1) | instskip(SKIP_1) | instid1(VALU_DEP_1)
	v_fma_f64 v[98:99], v[80:81], v[98:99], s[16:17]
	v_mul_f64 v[80:81], v[80:81], v[80:81]
	v_fma_f64 v[80:81], v[80:81], v[98:99], v[88:89]
	v_mul_f64 v[88:89], v[78:79], v[78:79]
	s_delay_alu instid0(VALU_DEP_2) | instskip(NEXT) | instid1(VALU_DEP_2)
	v_add_f64 v[80:81], v[90:91], v[80:81]
	v_mul_f64 v[98:99], v[88:89], 0.5
	v_mul_f64 v[108:109], v[88:89], v[88:89]
	v_mul_f64 v[110:111], v[78:79], -v[88:89]
	s_delay_alu instid0(VALU_DEP_4) | instskip(NEXT) | instid1(VALU_DEP_4)
	v_cndmask_b32_e32 v25, v80, v65, vcc_lo
	v_add_f64 v[102:103], -v[98:99], 1.0
	v_dual_cndmask_b32 v65, v81, v66 :: v_dual_lshlrev_b32 v66, 30, v100
	s_delay_alu instid0(VALU_DEP_3) | instskip(SKIP_1) | instid1(VALU_DEP_3)
	v_cndmask_b32_e64 v76, 0, v25, s0
	v_and_b32_e32 v25, 1, v101
	v_xor_b32_e32 v64, v66, v64
	s_delay_alu instid0(VALU_DEP_1) | instskip(NEXT) | instid1(VALU_DEP_1)
	v_and_b32_e32 v64, 0x80000000, v64
	v_xor_b32_e32 v64, v65, v64
	s_delay_alu instid0(VALU_DEP_1) | instskip(SKIP_1) | instid1(VALU_DEP_2)
	v_cndmask_b32_e64 v77, 0x7ff80000, v64, s0
	v_cmp_class_f64_e64 s0, v[67:68], 0x1f8
	v_mul_f64 v[64:65], v[76:77], v[76:77]
	v_cmp_gt_f64_e64 s1, s[100:101], v[76:77]
	v_add_f64 v[106:107], -v[102:103], 1.0
	s_delay_alu instid0(VALU_DEP_2) | instskip(NEXT) | instid1(VALU_DEP_4)
	v_cndmask_b32_e64 v65, v65, 0x3c9cd2b2, s1
	v_cndmask_b32_e64 v64, v64, 0x97d889bc, s1
	;; [unrolled: 1-line block ×4, first 2 shown]
	s_delay_alu instid0(VALU_DEP_3) | instskip(NEXT) | instid1(VALU_DEP_2)
	v_mul_f64 v[90:91], v[64:65], v[64:65]
	v_mul_f64 v[76:77], -v[76:77], v[82:83]
	v_add_f64 v[98:99], v[106:107], -v[98:99]
	v_fma_f64 v[106:107], v[88:89], s[6:7], s[4:5]
	s_delay_alu instid0(VALU_DEP_4) | instskip(NEXT) | instid1(VALU_DEP_3)
	v_div_scale_f64 v[64:65], null, v[90:91], v[90:91], v[20:21]
	v_fma_f64 v[98:99], v[78:79], -v[84:85], v[98:99]
	s_delay_alu instid0(VALU_DEP_3) | instskip(NEXT) | instid1(VALU_DEP_3)
	v_fma_f64 v[106:107], v[88:89], v[106:107], s[10:11]
	v_rcp_f64_e32 v[80:81], v[64:65]
	s_delay_alu instid0(VALU_DEP_1) | instskip(NEXT) | instid1(VALU_DEP_1)
	v_fma_f64 v[106:107], v[88:89], v[106:107], s[12:13]
	v_fma_f64 v[106:107], v[88:89], v[106:107], s[14:15]
	s_delay_alu instid0(VALU_DEP_1) | instskip(NEXT) | instid1(VALU_DEP_1)
	v_fma_f64 v[106:107], v[88:89], v[106:107], s[16:17]
	v_fma_f64 v[98:99], v[108:109], v[106:107], v[98:99]
	;; [unrolled: 1-line block ×3, first 2 shown]
	v_mul_f64 v[108:109], v[84:85], 0.5
	s_delay_alu instid0(VALU_DEP_2) | instskip(NEXT) | instid1(VALU_DEP_1)
	v_fma_f64 v[106:107], v[88:89], v[106:107], s[22:23]
	v_fma_f64 v[106:107], v[88:89], v[106:107], s[24:25]
	s_delay_alu instid0(VALU_DEP_1) | instskip(NEXT) | instid1(VALU_DEP_1)
	v_fma_f64 v[106:107], v[88:89], v[106:107], s[26:27]
	v_fma_f64 v[106:107], v[110:111], v[106:107], v[108:109]
	s_delay_alu instid0(VALU_DEP_1) | instskip(NEXT) | instid1(TRANS32_DEP_1)
	v_fma_f64 v[84:85], v[88:89], v[106:107], -v[84:85]
	v_fma_f64 v[88:89], -v[64:65], v[80:81], 1.0
	s_delay_alu instid0(VALU_DEP_1) | instskip(NEXT) | instid1(VALU_DEP_1)
	v_fma_f64 v[80:81], v[80:81], v[88:89], v[80:81]
	v_fma_f64 v[88:89], -v[64:65], v[80:81], 1.0
	s_delay_alu instid0(VALU_DEP_1) | instskip(SKIP_1) | instid1(VALU_DEP_1)
	v_fma_f64 v[80:81], v[80:81], v[88:89], v[80:81]
	v_div_scale_f64 v[88:89], vcc_lo, v[20:21], v[90:91], v[20:21]
	v_mul_f64 v[104:105], v[88:89], v[80:81]
	s_delay_alu instid0(VALU_DEP_1) | instskip(NEXT) | instid1(VALU_DEP_1)
	v_fma_f64 v[64:65], -v[64:65], v[104:105], v[88:89]
	v_div_fmas_f64 v[104:105], v[64:65], v[80:81], v[104:105]
	v_fma_f64 v[64:65], v[110:111], s[28:29], v[84:85]
	v_cmp_eq_u32_e32 vcc_lo, 0, v25
	s_delay_alu instid0(VALU_DEP_3) | instskip(NEXT) | instid1(VALU_DEP_3)
	v_div_fixup_f64 v[90:91], v[104:105], v[90:91], v[20:21]
	v_add_f64 v[64:65], v[78:79], -v[64:65]
	v_add_f64 v[78:79], v[102:103], v[98:99]
	s_delay_alu instid0(VALU_DEP_3) | instskip(NEXT) | instid1(VALU_DEP_3)
	v_add_f64 v[82:83], v[90:91], -v[6:7]
	v_xor_b32_e32 v25, 0x80000000, v65
	s_delay_alu instid0(VALU_DEP_3) | instskip(NEXT) | instid1(VALU_DEP_2)
	v_dual_cndmask_b32 v64, v64, v78 :: v_dual_lshlrev_b32 v65, 30, v101
	v_cndmask_b32_e32 v25, v25, v79, vcc_lo
	s_delay_alu instid0(VALU_DEP_2) | instskip(NEXT) | instid1(VALU_DEP_3)
	v_and_b32_e32 v65, 0x80000000, v65
	v_cndmask_b32_e64 v98, 0, v64, s0
	s_delay_alu instid0(VALU_DEP_2) | instskip(SKIP_1) | instid1(VALU_DEP_2)
	v_xor_b32_e32 v25, v25, v65
	v_fma_f64 v[64:65], v[69:70], -2.0, v[86:87]
	v_cndmask_b32_e64 v99, 0x7ff80000, v25, s0
	v_mul_f64 v[76:77], v[82:83], v[76:77]
	s_delay_alu instid0(VALU_DEP_3) | instskip(SKIP_1) | instid1(VALU_DEP_3)
	v_add_f64 v[102:103], v[6:7], v[64:65]
	v_mul_f64 v[64:65], v[36:37], -v[38:39]
	v_mul_f64 v[76:77], v[76:77], v[71:72]
	s_delay_alu instid0(VALU_DEP_2) | instskip(NEXT) | instid1(VALU_DEP_2)
	v_fma_f64 v[100:101], v[64:65], s[36:37], v[16:17]
	v_mul_f64 v[82:83], v[36:37], v[76:77]
	s_delay_alu instid0(VALU_DEP_2) | instskip(NEXT) | instid1(VALU_DEP_1)
	v_mul_f64 v[66:67], v[102:103], -v[100:101]
	v_mul_f64 v[66:67], v[66:67], v[71:72]
	s_delay_alu instid0(VALU_DEP_1) | instskip(SKIP_1) | instid1(VALU_DEP_1)
	v_mul_f64 v[80:81], v[36:37], v[66:67]
	v_fma_f64 v[66:67], v[62:63], s[44:45], v[2:3]
	v_fma_f64 v[78:79], v[80:81], s[42:43], v[66:67]
	v_mul_f64 v[66:67], v[98:99], v[98:99]
	s_delay_alu instid0(VALU_DEP_2) | instskip(NEXT) | instid1(VALU_DEP_1)
	v_mul_f64 v[88:89], v[78:79], v[78:79]
	v_fma_f64 v[84:85], v[6:7], v[66:67], v[88:89]
	s_delay_alu instid0(VALU_DEP_1) | instskip(NEXT) | instid1(VALU_DEP_1)
	v_div_scale_f64 v[66:67], null, v[84:85], v[84:85], 1.0
	v_rcp_f64_e32 v[106:107], v[66:67]
	s_waitcnt_depctr 0xfff
	v_fma_f64 v[108:109], -v[66:67], v[106:107], 1.0
	s_delay_alu instid0(VALU_DEP_1) | instskip(NEXT) | instid1(VALU_DEP_1)
	v_fma_f64 v[106:107], v[106:107], v[108:109], v[106:107]
	v_fma_f64 v[108:109], -v[66:67], v[106:107], 1.0
	s_delay_alu instid0(VALU_DEP_1) | instskip(SKIP_1) | instid1(VALU_DEP_1)
	v_fma_f64 v[106:107], v[106:107], v[108:109], v[106:107]
	v_div_scale_f64 v[108:109], vcc_lo, 1.0, v[84:85], 1.0
	v_mul_f64 v[110:111], v[108:109], v[106:107]
	s_delay_alu instid0(VALU_DEP_1) | instskip(NEXT) | instid1(VALU_DEP_1)
	v_fma_f64 v[66:67], -v[66:67], v[110:111], v[108:109]
	v_div_fmas_f64 v[66:67], v[66:67], v[106:107], v[110:111]
	s_mov_b32 vcc_lo, s44
                                        ; implicit-def: $vgpr109_vgpr110
                                        ; implicit-def: $vgpr111_vgpr112
	s_delay_alu instid0(SALU_CYCLE_1) | instskip(NEXT) | instid1(VALU_DEP_2)
	v_fma_f64 v[76:77], v[34:35], vcc, v[4:5]
	v_div_fixup_f64 v[90:91], v[66:67], v[84:85], 1.0
	v_fma_f64 v[66:67], v[60:61], s[44:45], v[18:19]
	s_delay_alu instid0(VALU_DEP_3) | instskip(NEXT) | instid1(VALU_DEP_2)
	v_fma_f64 v[76:77], v[74:75], s[40:41], v[76:77]
	v_fma_f64 v[66:67], v[82:83], s[42:43], v[66:67]
	s_delay_alu instid0(VALU_DEP_1) | instskip(NEXT) | instid1(VALU_DEP_1)
	v_mul_f64 v[66:67], v[90:91], -v[66:67]
	v_mul_f64 v[66:67], v[36:37], v[66:67]
	s_delay_alu instid0(VALU_DEP_1) | instskip(NEXT) | instid1(VALU_DEP_1)
	v_fma_f64 v[76:77], v[66:67], s[38:39], v[76:77]
	v_cmp_ngt_f64_e64 s28, 0x41d00000, |v[76:77]|
	v_trig_preop_f64 v[117:118], |v[76:77]|, 0
	v_trig_preop_f64 v[115:116], |v[76:77]|, 1
	v_ldexp_f64 v[119:120], |v[76:77]|, 0xffffff80
	v_trig_preop_f64 v[113:114], |v[76:77]|, 2
	v_and_b32_e32 v121, 0x7fffffff, v77
	s_and_saveexec_b32 s1, s28
	s_delay_alu instid0(SALU_CYCLE_1)
	s_xor_b32 s38, exec_lo, s1
	s_cbranch_execz .LBB0_108
; %bb.107:                              ;   in Loop: Header=BB0_90 Depth=2
	v_cmp_le_f64_e64 vcc_lo, 0x7b000000, |v[76:77]|
	s_mov_b32 s2, s88
	s_mov_b32 s93, s91
	s_delay_alu instid0(VALU_DEP_4) | instskip(NEXT) | instid1(VALU_DEP_1)
	v_dual_cndmask_b32 v105, v121, v120 :: v_dual_cndmask_b32 v104, v76, v119
	v_mul_f64 v[106:107], v[117:118], v[104:105]
	v_mul_f64 v[108:109], v[115:116], v[104:105]
	s_delay_alu instid0(VALU_DEP_2) | instskip(NEXT) | instid1(VALU_DEP_1)
	v_fma_f64 v[110:111], v[117:118], v[104:105], -v[106:107]
	v_add_f64 v[122:123], v[108:109], v[110:111]
	s_delay_alu instid0(VALU_DEP_1) | instskip(NEXT) | instid1(VALU_DEP_1)
	v_add_f64 v[124:125], v[122:123], -v[108:109]
	v_add_f64 v[110:111], v[110:111], -v[124:125]
	v_add_f64 v[124:125], v[122:123], -v[124:125]
	s_delay_alu instid0(VALU_DEP_1) | instskip(SKIP_1) | instid1(VALU_DEP_2)
	v_add_f64 v[124:125], v[108:109], -v[124:125]
	v_fma_f64 v[108:109], v[115:116], v[104:105], -v[108:109]
	v_add_f64 v[110:111], v[110:111], v[124:125]
	v_mul_f64 v[124:125], v[113:114], v[104:105]
	s_delay_alu instid0(VALU_DEP_1) | instskip(SKIP_1) | instid1(VALU_DEP_2)
	v_add_f64 v[126:127], v[124:125], v[108:109]
	v_fma_f64 v[104:105], v[113:114], v[104:105], -v[124:125]
	v_add_f64 v[128:129], v[126:127], -v[124:125]
	s_delay_alu instid0(VALU_DEP_1) | instskip(SKIP_1) | instid1(VALU_DEP_1)
	v_add_f64 v[108:109], v[108:109], -v[128:129]
	v_add_f64 v[128:129], v[126:127], -v[128:129]
	;; [unrolled: 1-line block ×3, first 2 shown]
	s_delay_alu instid0(VALU_DEP_1) | instskip(SKIP_1) | instid1(VALU_DEP_1)
	v_add_f64 v[108:109], v[108:109], v[128:129]
	v_add_f64 v[128:129], v[126:127], v[110:111]
	v_add_f64 v[130:131], v[128:129], -v[126:127]
	s_delay_alu instid0(VALU_DEP_1) | instskip(SKIP_1) | instid1(VALU_DEP_1)
	v_add_f64 v[110:111], v[110:111], -v[130:131]
	v_add_f64 v[130:131], v[128:129], -v[130:131]
	;; [unrolled: 1-line block ×3, first 2 shown]
	v_add_f64 v[130:131], v[106:107], v[122:123]
	s_delay_alu instid0(VALU_DEP_2) | instskip(NEXT) | instid1(VALU_DEP_2)
	v_add_f64 v[110:111], v[110:111], v[126:127]
	v_add_f64 v[106:107], v[130:131], -v[106:107]
	v_ldexp_f64 v[130:131], v[130:131], -2
	s_delay_alu instid0(VALU_DEP_3) | instskip(NEXT) | instid1(VALU_DEP_3)
	v_add_f64 v[108:109], v[108:109], v[110:111]
	v_add_f64 v[106:107], v[122:123], -v[106:107]
	s_delay_alu instid0(VALU_DEP_3) | instskip(SKIP_1) | instid1(VALU_DEP_4)
	v_fract_f64_e32 v[132:133], v[130:131]
	v_cmp_neq_f64_e64 vcc_lo, 0x7ff00000, |v[130:131]|
	v_add_f64 v[104:105], v[104:105], v[108:109]
	s_delay_alu instid0(VALU_DEP_4) | instskip(NEXT) | instid1(VALU_DEP_4)
	v_add_f64 v[110:111], v[106:107], v[128:129]
	v_dual_cndmask_b32 v123, 0, v133 :: v_dual_cndmask_b32 v122, 0, v132
	s_delay_alu instid0(VALU_DEP_1) | instskip(NEXT) | instid1(VALU_DEP_3)
	v_ldexp_f64 v[108:109], v[122:123], 2
	v_add_f64 v[106:107], v[110:111], -v[106:107]
	s_delay_alu instid0(VALU_DEP_2) | instskip(NEXT) | instid1(VALU_DEP_2)
	v_add_f64 v[122:123], v[110:111], v[108:109]
	v_add_f64 v[106:107], v[128:129], -v[106:107]
	s_delay_alu instid0(VALU_DEP_2) | instskip(NEXT) | instid1(VALU_DEP_2)
	v_cmp_gt_f64_e32 vcc_lo, 0, v[122:123]
	v_add_f64 v[104:105], v[106:107], v[104:105]
	v_cndmask_b32_e64 v25, 0, 0x40100000, vcc_lo
	s_delay_alu instid0(VALU_DEP_1) | instskip(NEXT) | instid1(VALU_DEP_1)
	v_add_f64 v[108:109], v[108:109], v[24:25]
	v_add_f64 v[122:123], v[110:111], v[108:109]
	s_delay_alu instid0(VALU_DEP_1) | instskip(NEXT) | instid1(VALU_DEP_1)
	v_cvt_i32_f64_e32 v25, v[122:123]
	v_cvt_f64_i32_e32 v[122:123], v25
	s_delay_alu instid0(VALU_DEP_1) | instskip(NEXT) | instid1(VALU_DEP_1)
	v_add_f64 v[108:109], v[108:109], -v[122:123]
	v_add_f64 v[106:107], v[110:111], v[108:109]
	s_delay_alu instid0(VALU_DEP_1) | instskip(SKIP_1) | instid1(VALU_DEP_2)
	v_add_f64 v[108:109], v[106:107], -v[108:109]
	v_cmp_le_f64_e32 vcc_lo, 0.5, v[106:107]
	v_add_f64 v[108:109], v[110:111], -v[108:109]
	v_add_co_ci_u32_e64 v131, s1, 0, v25, vcc_lo
	v_cndmask_b32_e64 v25, 0, 0x3ff00000, vcc_lo
	s_delay_alu instid0(VALU_DEP_1) | instskip(NEXT) | instid1(VALU_DEP_4)
	v_add_f64 v[106:107], v[106:107], -v[24:25]
	v_add_f64 v[104:105], v[104:105], v[108:109]
	s_delay_alu instid0(VALU_DEP_1) | instskip(NEXT) | instid1(VALU_DEP_1)
	v_add_f64 v[108:109], v[106:107], v[104:105]
	v_add_f64 v[106:107], v[108:109], -v[106:107]
	s_delay_alu instid0(VALU_DEP_1) | instskip(SKIP_1) | instid1(VALU_DEP_1)
	v_add_f64 v[104:105], v[104:105], -v[106:107]
	v_mul_f64 v[106:107], v[108:109], s[2:3]
	v_fma_f64 v[110:111], v[108:109], s[2:3], -v[106:107]
	s_delay_alu instid0(VALU_DEP_1) | instskip(NEXT) | instid1(VALU_DEP_1)
	v_fma_f64 v[108:109], v[108:109], s[92:93], v[110:111]
	v_fma_f64 v[104:105], v[104:105], s[2:3], v[108:109]
	s_delay_alu instid0(VALU_DEP_1) | instskip(NEXT) | instid1(VALU_DEP_1)
	v_add_f64 v[109:110], v[106:107], v[104:105]
	v_add_f64 v[106:107], v[109:110], -v[106:107]
	s_delay_alu instid0(VALU_DEP_1)
	v_add_f64 v[111:112], v[104:105], -v[106:107]
	s_and_not1_saveexec_b32 s1, s38
	s_cbranch_execz .LBB0_110
	s_branch .LBB0_109
.LBB0_108:                              ;   in Loop: Header=BB0_90 Depth=2
	s_and_not1_saveexec_b32 s1, s38
	s_cbranch_execz .LBB0_110
.LBB0_109:                              ;   in Loop: Header=BB0_90 Depth=2
	v_mul_f64 v[104:105], |v[76:77]|, s[94:95]
	s_mov_b32 s90, s96
	s_delay_alu instid0(VALU_DEP_1) | instskip(NEXT) | instid1(VALU_DEP_1)
	v_rndne_f64_e32 v[104:105], v[104:105]
	v_fma_f64 v[106:107], v[104:105], s[88:89], |v[76:77]|
	v_mul_f64 v[108:109], v[104:105], s[96:97]
	v_cvt_i32_f64_e32 v131, v[104:105]
	s_delay_alu instid0(VALU_DEP_3) | instskip(NEXT) | instid1(VALU_DEP_3)
	v_fma_f64 v[122:123], v[104:105], s[96:97], v[106:107]
	v_add_f64 v[110:111], v[106:107], v[108:109]
	s_delay_alu instid0(VALU_DEP_1) | instskip(NEXT) | instid1(VALU_DEP_3)
	v_add_f64 v[106:107], v[106:107], -v[110:111]
	v_add_f64 v[110:111], v[110:111], -v[122:123]
	s_delay_alu instid0(VALU_DEP_2) | instskip(SKIP_1) | instid1(VALU_DEP_2)
	v_add_f64 v[106:107], v[106:107], v[108:109]
	v_fma_f64 v[108:109], v[104:105], s[90:91], v[108:109]
	v_add_f64 v[106:107], v[110:111], v[106:107]
	s_delay_alu instid0(VALU_DEP_1) | instskip(NEXT) | instid1(VALU_DEP_1)
	v_add_f64 v[106:107], v[106:107], -v[108:109]
	v_fma_f64 v[106:107], v[104:105], s[98:99], v[106:107]
	s_delay_alu instid0(VALU_DEP_1) | instskip(NEXT) | instid1(VALU_DEP_1)
	v_add_f64 v[109:110], v[122:123], v[106:107]
	v_add_f64 v[111:112], v[109:110], -v[122:123]
	s_delay_alu instid0(VALU_DEP_1)
	v_add_f64 v[111:112], v[106:107], -v[111:112]
.LBB0_110:                              ;   in Loop: Header=BB0_90 Depth=2
	s_or_b32 exec_lo, exec_lo, s1
                                        ; implicit-def: $vgpr108
                                        ; implicit-def: $vgpr104_vgpr105
                                        ; implicit-def: $vgpr106_vgpr107
	s_and_saveexec_b32 s1, s28
	s_delay_alu instid0(SALU_CYCLE_1)
	s_xor_b32 s28, exec_lo, s1
	s_cbranch_execz .LBB0_112
; %bb.111:                              ;   in Loop: Header=BB0_90 Depth=2
	v_cmp_le_f64_e64 vcc_lo, 0x7b000000, |v[76:77]|
	s_mov_b32 s2, s88
	s_mov_b32 s93, s91
	s_delay_alu instid0(VALU_DEP_4) | instskip(NEXT) | instid1(VALU_DEP_1)
	v_dual_cndmask_b32 v105, v121, v120 :: v_dual_cndmask_b32 v104, v76, v119
	v_mul_f64 v[106:107], v[117:118], v[104:105]
	v_mul_f64 v[119:120], v[115:116], v[104:105]
	;; [unrolled: 1-line block ×3, first 2 shown]
	s_delay_alu instid0(VALU_DEP_3) | instskip(NEXT) | instid1(VALU_DEP_3)
	v_fma_f64 v[117:118], v[117:118], v[104:105], -v[106:107]
	v_fma_f64 v[115:116], v[115:116], v[104:105], -v[119:120]
	s_delay_alu instid0(VALU_DEP_3) | instskip(NEXT) | instid1(VALU_DEP_3)
	v_fma_f64 v[104:105], v[113:114], v[104:105], -v[121:122]
	v_add_f64 v[123:124], v[119:120], v[117:118]
	s_delay_alu instid0(VALU_DEP_1) | instskip(NEXT) | instid1(VALU_DEP_1)
	v_add_f64 v[113:114], v[123:124], -v[119:120]
	v_add_f64 v[117:118], v[117:118], -v[113:114]
	;; [unrolled: 1-line block ×3, first 2 shown]
	s_delay_alu instid0(VALU_DEP_1) | instskip(SKIP_1) | instid1(VALU_DEP_2)
	v_add_f64 v[113:114], v[119:120], -v[113:114]
	v_add_f64 v[119:120], v[106:107], v[123:124]
	v_add_f64 v[113:114], v[117:118], v[113:114]
	s_delay_alu instid0(VALU_DEP_2) | instskip(SKIP_1) | instid1(VALU_DEP_2)
	v_add_f64 v[106:107], v[119:120], -v[106:107]
	v_ldexp_f64 v[119:120], v[119:120], -2
	v_add_f64 v[106:107], v[123:124], -v[106:107]
	v_add_f64 v[123:124], v[121:122], v[115:116]
	s_delay_alu instid0(VALU_DEP_3) | instskip(SKIP_1) | instid1(VALU_DEP_3)
	v_fract_f64_e32 v[117:118], v[119:120]
	v_cmp_neq_f64_e64 vcc_lo, 0x7ff00000, |v[119:120]|
	v_add_f64 v[119:120], v[123:124], -v[121:122]
	s_delay_alu instid0(VALU_DEP_3) | instskip(NEXT) | instid1(VALU_DEP_1)
	v_dual_cndmask_b32 v118, 0, v118 :: v_dual_cndmask_b32 v117, 0, v117
	v_ldexp_f64 v[117:118], v[117:118], 2
	s_delay_alu instid0(VALU_DEP_3) | instskip(SKIP_1) | instid1(VALU_DEP_1)
	v_add_f64 v[115:116], v[115:116], -v[119:120]
	v_add_f64 v[119:120], v[123:124], -v[119:120]
	;; [unrolled: 1-line block ×3, first 2 shown]
	v_add_f64 v[121:122], v[123:124], v[113:114]
	s_delay_alu instid0(VALU_DEP_2) | instskip(NEXT) | instid1(VALU_DEP_2)
	v_add_f64 v[115:116], v[115:116], v[119:120]
	v_add_f64 v[119:120], v[121:122], -v[123:124]
	s_delay_alu instid0(VALU_DEP_1) | instskip(SKIP_1) | instid1(VALU_DEP_1)
	v_add_f64 v[113:114], v[113:114], -v[119:120]
	v_add_f64 v[119:120], v[121:122], -v[119:120]
	;; [unrolled: 1-line block ×3, first 2 shown]
	v_add_f64 v[123:124], v[106:107], v[121:122]
	s_delay_alu instid0(VALU_DEP_2) | instskip(NEXT) | instid1(VALU_DEP_2)
	v_add_f64 v[113:114], v[113:114], v[119:120]
	v_add_f64 v[125:126], v[123:124], v[117:118]
	v_add_f64 v[106:107], v[123:124], -v[106:107]
	s_delay_alu instid0(VALU_DEP_3) | instskip(NEXT) | instid1(VALU_DEP_3)
	v_add_f64 v[113:114], v[115:116], v[113:114]
	v_cmp_gt_f64_e32 vcc_lo, 0, v[125:126]
	s_delay_alu instid0(VALU_DEP_3) | instskip(NEXT) | instid1(VALU_DEP_3)
	v_add_f64 v[106:107], v[121:122], -v[106:107]
	v_add_f64 v[104:105], v[104:105], v[113:114]
	v_cndmask_b32_e64 v25, 0, 0x40100000, vcc_lo
	s_delay_alu instid0(VALU_DEP_1) | instskip(NEXT) | instid1(VALU_DEP_3)
	v_add_f64 v[117:118], v[117:118], v[24:25]
	v_add_f64 v[104:105], v[106:107], v[104:105]
	s_delay_alu instid0(VALU_DEP_2) | instskip(NEXT) | instid1(VALU_DEP_1)
	v_add_f64 v[119:120], v[123:124], v[117:118]
	v_cvt_i32_f64_e32 v25, v[119:120]
	s_delay_alu instid0(VALU_DEP_1) | instskip(NEXT) | instid1(VALU_DEP_1)
	v_cvt_f64_i32_e32 v[119:120], v25
	v_add_f64 v[117:118], v[117:118], -v[119:120]
	s_delay_alu instid0(VALU_DEP_1) | instskip(NEXT) | instid1(VALU_DEP_1)
	v_add_f64 v[115:116], v[123:124], v[117:118]
	v_add_f64 v[113:114], v[115:116], -v[117:118]
	v_cmp_le_f64_e32 vcc_lo, 0.5, v[115:116]
	s_delay_alu instid0(VALU_DEP_2) | instskip(SKIP_2) | instid1(VALU_DEP_3)
	v_add_f64 v[106:107], v[123:124], -v[113:114]
	v_add_co_ci_u32_e64 v108, s1, 0, v25, vcc_lo
	v_cndmask_b32_e64 v25, 0, 0x3ff00000, vcc_lo
	v_add_f64 v[104:105], v[104:105], v[106:107]
	s_delay_alu instid0(VALU_DEP_2) | instskip(NEXT) | instid1(VALU_DEP_1)
	v_add_f64 v[106:107], v[115:116], -v[24:25]
	v_add_f64 v[113:114], v[106:107], v[104:105]
	s_delay_alu instid0(VALU_DEP_1) | instskip(SKIP_1) | instid1(VALU_DEP_2)
	v_mul_f64 v[115:116], v[113:114], s[2:3]
	v_add_f64 v[106:107], v[113:114], -v[106:107]
	v_fma_f64 v[117:118], v[113:114], s[2:3], -v[115:116]
	s_delay_alu instid0(VALU_DEP_2) | instskip(NEXT) | instid1(VALU_DEP_2)
	v_add_f64 v[104:105], v[104:105], -v[106:107]
	v_fma_f64 v[106:107], v[113:114], s[92:93], v[117:118]
	s_delay_alu instid0(VALU_DEP_1) | instskip(NEXT) | instid1(VALU_DEP_1)
	v_fma_f64 v[106:107], v[104:105], s[2:3], v[106:107]
	v_add_f64 v[104:105], v[115:116], v[106:107]
	s_delay_alu instid0(VALU_DEP_1) | instskip(NEXT) | instid1(VALU_DEP_1)
	v_add_f64 v[113:114], v[104:105], -v[115:116]
	v_add_f64 v[106:107], v[106:107], -v[113:114]
	s_and_not1_saveexec_b32 s1, s28
	s_cbranch_execnz .LBB0_113
	s_branch .LBB0_114
.LBB0_112:                              ;   in Loop: Header=BB0_90 Depth=2
	s_and_not1_saveexec_b32 s1, s28
	s_cbranch_execz .LBB0_114
.LBB0_113:                              ;   in Loop: Header=BB0_90 Depth=2
	v_mul_f64 v[104:105], |v[76:77]|, s[94:95]
	s_mov_b32 s90, s96
	s_delay_alu instid0(VALU_DEP_1) | instskip(NEXT) | instid1(VALU_DEP_1)
	v_rndne_f64_e32 v[113:114], v[104:105]
	v_fma_f64 v[104:105], v[113:114], s[88:89], |v[76:77]|
	v_mul_f64 v[106:107], v[113:114], s[96:97]
	v_cvt_i32_f64_e32 v108, v[113:114]
	s_delay_alu instid0(VALU_DEP_3) | instskip(NEXT) | instid1(VALU_DEP_3)
	v_fma_f64 v[117:118], v[113:114], s[96:97], v[104:105]
	v_add_f64 v[115:116], v[104:105], v[106:107]
	s_delay_alu instid0(VALU_DEP_1) | instskip(NEXT) | instid1(VALU_DEP_3)
	v_add_f64 v[104:105], v[104:105], -v[115:116]
	v_add_f64 v[115:116], v[115:116], -v[117:118]
	s_delay_alu instid0(VALU_DEP_2) | instskip(SKIP_1) | instid1(VALU_DEP_2)
	v_add_f64 v[104:105], v[104:105], v[106:107]
	v_fma_f64 v[106:107], v[113:114], s[90:91], v[106:107]
	v_add_f64 v[104:105], v[115:116], v[104:105]
	s_delay_alu instid0(VALU_DEP_1) | instskip(NEXT) | instid1(VALU_DEP_1)
	v_add_f64 v[104:105], v[104:105], -v[106:107]
	v_fma_f64 v[106:107], v[113:114], s[98:99], v[104:105]
	s_delay_alu instid0(VALU_DEP_1) | instskip(NEXT) | instid1(VALU_DEP_1)
	v_add_f64 v[104:105], v[117:118], v[106:107]
	v_add_f64 v[115:116], v[104:105], -v[117:118]
	s_delay_alu instid0(VALU_DEP_1)
	v_add_f64 v[106:107], v[106:107], -v[115:116]
.LBB0_114:                              ;   in Loop: Header=BB0_90 Depth=2
	s_or_b32 exec_lo, exec_lo, s1
	v_mul_f64 v[92:93], v[102:103], v[92:93]
	s_mov_b32 vcc_lo, s44
	v_add_f64 v[113:114], v[69:70], v[69:70]
	v_fma_f64 v[115:116], v[62:63], vcc, v[2:3]
	v_fma_f64 v[121:122], v[60:61], vcc, v[18:19]
	v_add_f64 v[69:70], v[69:70], -1.0
	v_add_f64 v[86:87], v[6:7], v[86:87]
	v_fma_f64 v[117:118], v[34:35], s[46:47], v[4:5]
	s_mov_b32 s40, s42
	s_mov_b32 s28, s16
	v_fma_f64 v[119:120], v[64:65], s[44:45], v[16:17]
	v_and_b32_e32 v25, 1, v73
	s_mov_b32 s38, s44
	s_mov_b32 s48, s50
                                        ; implicit-def: $vgpr146
	v_div_scale_f64 v[102:103], null, v[92:93], v[92:93], 1.0
	s_delay_alu instid0(VALU_DEP_1) | instskip(SKIP_2) | instid1(VALU_DEP_1)
	v_rcp_f64_e32 v[123:124], v[102:103]
	s_waitcnt_depctr 0xfff
	v_fma_f64 v[125:126], -v[102:103], v[123:124], 1.0
	v_fma_f64 v[123:124], v[123:124], v[125:126], v[123:124]
	s_delay_alu instid0(VALU_DEP_1) | instskip(NEXT) | instid1(VALU_DEP_1)
	v_fma_f64 v[125:126], -v[102:103], v[123:124], 1.0
	v_fma_f64 v[123:124], v[123:124], v[125:126], v[123:124]
	v_div_scale_f64 v[125:126], vcc_lo, 1.0, v[92:93], 1.0
	s_delay_alu instid0(VALU_DEP_1) | instskip(NEXT) | instid1(VALU_DEP_1)
	v_mul_f64 v[127:128], v[125:126], v[123:124]
	v_fma_f64 v[102:103], -v[102:103], v[127:128], v[125:126]
	s_delay_alu instid0(VALU_DEP_1) | instskip(SKIP_1) | instid1(VALU_DEP_2)
	v_div_fmas_f64 v[102:103], v[102:103], v[123:124], v[127:128]
	v_cmp_eq_u32_e32 vcc_lo, 0, v25
	v_div_fixup_f64 v[92:93], v[102:103], v[92:93], 1.0
	v_mul_f64 v[102:103], v[22:23], v[69:70]
	s_delay_alu instid0(VALU_DEP_1) | instskip(SKIP_1) | instid1(VALU_DEP_2)
	v_fma_f64 v[86:87], v[113:114], v[86:87], -v[102:103]
	v_add_f64 v[102:103], v[100:101], v[100:101]
	v_add_f64 v[86:87], v[86:87], -v[28:29]
	s_delay_alu instid0(VALU_DEP_2) | instskip(SKIP_2) | instid1(VALU_DEP_3)
	v_mul_f64 v[100:101], v[100:101], v[102:103]
	v_fma_f64 v[102:103], 0x40040000, v[74:75], v[117:118]
	v_mul_f64 v[117:118], v[96:97], 0.5
	v_mul_f64 v[69:70], v[69:70], v[100:101]
	v_fma_f64 v[100:101], v[80:81], s[40:41], v[115:116]
	v_fma_f64 v[115:116], v[82:83], s[40:41], v[121:122]
	s_delay_alu instid0(VALU_DEP_3) | instskip(NEXT) | instid1(VALU_DEP_1)
	v_mul_f64 v[69:70], v[69:70], v[71:72]
	v_fma_f64 v[69:70], v[86:87], v[92:93], -v[69:70]
	s_delay_alu instid0(VALU_DEP_1) | instskip(SKIP_1) | instid1(VALU_DEP_2)
	v_mul_f64 v[86:87], v[36:37], -v[69:70]
	v_mul_f64 v[69:70], v[94:95], v[94:95]
	v_fma_f64 v[113:114], v[86:87], s[42:43], v[119:120]
	s_delay_alu instid0(VALU_DEP_2) | instskip(SKIP_3) | instid1(VALU_DEP_4)
	v_fma_f64 v[92:93], v[69:70], s[20:21], s[18:19]
	v_mul_f64 v[71:72], v[94:95], -v[69:70]
	v_fma_f64 v[121:122], v[69:70], s[6:7], s[4:5]
	v_mul_f64 v[119:120], v[69:70], v[69:70]
	v_fma_f64 v[92:93], v[69:70], v[92:93], s[22:23]
	s_delay_alu instid0(VALU_DEP_3) | instskip(NEXT) | instid1(VALU_DEP_2)
	v_fma_f64 v[121:122], v[69:70], v[121:122], s[10:11]
	v_fma_f64 v[92:93], v[69:70], v[92:93], s[24:25]
	s_delay_alu instid0(VALU_DEP_2) | instskip(NEXT) | instid1(VALU_DEP_2)
	v_fma_f64 v[121:122], v[69:70], v[121:122], s[12:13]
	v_fma_f64 v[92:93], v[69:70], v[92:93], s[26:27]
	s_delay_alu instid0(VALU_DEP_2) | instskip(NEXT) | instid1(VALU_DEP_2)
	v_fma_f64 v[121:122], v[69:70], v[121:122], s[14:15]
	v_fma_f64 v[92:93], v[71:72], v[92:93], v[117:118]
	s_delay_alu instid0(VALU_DEP_1) | instskip(NEXT) | instid1(VALU_DEP_1)
	v_fma_f64 v[92:93], v[69:70], v[92:93], -v[96:97]
	v_fma_f64 v[71:72], v[71:72], s[28:29], v[92:93]
	v_mul_f64 v[92:93], v[69:70], 0.5
	v_fma_f64 v[69:70], v[69:70], v[121:122], s[16:17]
	s_delay_alu instid0(VALU_DEP_3) | instskip(NEXT) | instid1(VALU_DEP_3)
	v_add_f64 v[71:72], v[94:95], -v[71:72]
	v_add_f64 v[117:118], -v[92:93], 1.0
	s_delay_alu instid0(VALU_DEP_1) | instskip(NEXT) | instid1(VALU_DEP_1)
	v_add_f64 v[121:122], -v[117:118], 1.0
	v_add_f64 v[92:93], v[121:122], -v[92:93]
	s_delay_alu instid0(VALU_DEP_1) | instskip(NEXT) | instid1(VALU_DEP_1)
	v_fma_f64 v[92:93], v[94:95], -v[96:97], v[92:93]
	v_fma_f64 v[69:70], v[119:120], v[69:70], v[92:93]
	s_delay_alu instid0(VALU_DEP_1) | instskip(NEXT) | instid1(VALU_DEP_1)
	v_add_f64 v[69:70], v[117:118], v[69:70]
	v_cndmask_b32_e32 v25, v69, v71, vcc_lo
	s_delay_alu instid0(VALU_DEP_2) | instskip(NEXT) | instid1(VALU_DEP_1)
	v_dual_cndmask_b32 v69, v70, v72 :: v_dual_lshlrev_b32 v70, 30, v73
	v_xor_b32_e32 v68, v70, v68
	s_delay_alu instid0(VALU_DEP_1) | instskip(NEXT) | instid1(VALU_DEP_1)
	v_and_b32_e32 v68, 0x80000000, v68
	v_xor_b32_e32 v69, v69, v68
	v_cndmask_b32_e64 v68, 0, v25, s0
	s_delay_alu instid0(VALU_DEP_2) | instskip(SKIP_2) | instid1(VALU_DEP_3)
	v_cndmask_b32_e64 v69, 0x7ff80000, v69, s0
	v_cmp_class_f64_e64 s0, v[76:77], 0x1f8
	v_and_b32_e32 v76, 1, v108
	v_mul_f64 v[70:71], v[68:69], v[68:69]
	v_cmp_gt_f64_e32 vcc_lo, s[100:101], v[68:69]
	s_delay_alu instid0(VALU_DEP_2) | instskip(NEXT) | instid1(VALU_DEP_3)
	v_cndmask_b32_e64 v93, v71, 0x3c9cd2b2, vcc_lo
	v_cndmask_b32_e64 v92, v70, 0x97d889bc, vcc_lo
	;; [unrolled: 1-line block ×4, first 2 shown]
	v_fma_f64 v[70:71], v[78:79], -2.0, v[88:89]
	s_delay_alu instid0(VALU_DEP_4) | instskip(NEXT) | instid1(VALU_DEP_3)
	v_mul_f64 v[72:73], v[92:93], v[92:93]
	v_mul_f64 v[68:69], -v[68:69], v[98:99]
	s_delay_alu instid0(VALU_DEP_3) | instskip(NEXT) | instid1(VALU_DEP_3)
	v_add_f64 v[117:118], v[6:7], v[70:71]
	v_div_scale_f64 v[94:95], null, v[72:73], v[72:73], v[20:21]
	s_delay_alu instid0(VALU_DEP_2) | instskip(NEXT) | instid1(VALU_DEP_2)
	v_mul_f64 v[70:71], v[117:118], -v[113:114]
	v_rcp_f64_e32 v[96:97], v[94:95]
	s_delay_alu instid0(VALU_DEP_1) | instskip(SKIP_3) | instid1(VALU_DEP_2)
	v_mul_f64 v[70:71], v[70:71], v[90:91]
	s_waitcnt_depctr 0xfff
	v_fma_f64 v[98:99], -v[94:95], v[96:97], 1.0
	v_mul_f64 v[70:71], v[36:37], v[70:71]
	v_fma_f64 v[96:97], v[96:97], v[98:99], v[96:97]
	s_delay_alu instid0(VALU_DEP_1) | instskip(NEXT) | instid1(VALU_DEP_1)
	v_fma_f64 v[98:99], -v[94:95], v[96:97], 1.0
	v_fma_f64 v[96:97], v[96:97], v[98:99], v[96:97]
	v_div_scale_f64 v[98:99], vcc_lo, v[20:21], v[72:73], v[20:21]
	s_delay_alu instid0(VALU_DEP_1) | instskip(NEXT) | instid1(VALU_DEP_1)
	v_mul_f64 v[119:120], v[98:99], v[96:97]
	v_fma_f64 v[94:95], -v[94:95], v[119:120], v[98:99]
	v_fma_f64 v[98:99], v[66:67], s[50:51], v[102:103]
	s_delay_alu instid0(VALU_DEP_2) | instskip(SKIP_2) | instid1(VALU_DEP_3)
	v_div_fmas_f64 v[94:95], v[94:95], v[96:97], v[119:120]
	v_mul_f64 v[96:97], v[104:105], v[104:105]
	v_cmp_eq_u32_e32 vcc_lo, 0, v76
	v_div_fixup_f64 v[72:73], v[94:95], v[72:73], v[20:21]
	v_fma_f64 v[94:95], v[70:71], s[38:39], v[100:101]
	s_delay_alu instid0(VALU_DEP_4) | instskip(SKIP_1) | instid1(VALU_DEP_4)
	v_mul_f64 v[100:101], v[96:97], 0.5
	v_fma_f64 v[119:120], v[96:97], s[6:7], s[4:5]
	v_add_f64 v[72:73], v[72:73], -v[6:7]
	s_delay_alu instid0(VALU_DEP_3) | instskip(NEXT) | instid1(VALU_DEP_3)
	v_add_f64 v[102:103], -v[100:101], 1.0
	v_fma_f64 v[119:120], v[96:97], v[119:120], s[10:11]
	s_delay_alu instid0(VALU_DEP_3) | instskip(NEXT) | instid1(VALU_DEP_2)
	v_mul_f64 v[68:69], v[72:73], v[68:69]
	v_fma_f64 v[119:120], v[96:97], v[119:120], s[12:13]
	s_delay_alu instid0(VALU_DEP_2) | instskip(NEXT) | instid1(VALU_DEP_2)
	v_mul_f64 v[68:69], v[68:69], v[90:91]
	v_fma_f64 v[119:120], v[96:97], v[119:120], s[14:15]
	s_delay_alu instid0(VALU_DEP_2) | instskip(NEXT) | instid1(VALU_DEP_2)
	v_mul_f64 v[68:69], v[36:37], v[68:69]
	v_fma_f64 v[119:120], v[96:97], v[119:120], s[16:17]
	s_delay_alu instid0(VALU_DEP_2) | instskip(SKIP_1) | instid1(VALU_DEP_1)
	v_fma_f64 v[72:73], v[68:69], s[38:39], v[115:116]
	v_add_f64 v[115:116], -v[102:103], 1.0
	v_add_f64 v[100:101], v[115:116], -v[100:101]
	v_mul_f64 v[115:116], v[96:97], v[96:97]
	s_delay_alu instid0(VALU_DEP_2) | instskip(NEXT) | instid1(VALU_DEP_1)
	v_fma_f64 v[100:101], v[104:105], -v[106:107], v[100:101]
	v_fma_f64 v[100:101], v[115:116], v[119:120], v[100:101]
	v_mul_f64 v[115:116], v[104:105], -v[96:97]
	v_mul_f64 v[119:120], v[106:107], 0.5
	s_delay_alu instid0(VALU_DEP_3) | instskip(SKIP_1) | instid1(VALU_DEP_1)
	v_add_f64 v[100:101], v[102:103], v[100:101]
	v_fma_f64 v[102:103], v[96:97], s[20:21], s[18:19]
	v_fma_f64 v[102:103], v[96:97], v[102:103], s[22:23]
	s_delay_alu instid0(VALU_DEP_1) | instskip(NEXT) | instid1(VALU_DEP_1)
	v_fma_f64 v[102:103], v[96:97], v[102:103], s[24:25]
	v_fma_f64 v[102:103], v[96:97], v[102:103], s[26:27]
	s_delay_alu instid0(VALU_DEP_1) | instskip(NEXT) | instid1(VALU_DEP_1)
	v_fma_f64 v[102:103], v[115:116], v[102:103], v[119:120]
	v_fma_f64 v[96:97], v[96:97], v[102:103], -v[106:107]
	s_delay_alu instid0(VALU_DEP_1) | instskip(NEXT) | instid1(VALU_DEP_1)
	v_fma_f64 v[96:97], v[115:116], s[28:29], v[96:97]
	v_add_f64 v[96:97], v[104:105], -v[96:97]
	s_delay_alu instid0(VALU_DEP_1) | instskip(NEXT) | instid1(VALU_DEP_2)
	v_xor_b32_e32 v25, 0x80000000, v97
	v_cndmask_b32_e32 v76, v96, v100, vcc_lo
	s_delay_alu instid0(VALU_DEP_2) | instskip(NEXT) | instid1(VALU_DEP_2)
	v_dual_cndmask_b32 v25, v25, v101 :: v_dual_lshlrev_b32 v96, 30, v108
	v_cndmask_b32_e64 v121, 0, v76, s0
	s_delay_alu instid0(VALU_DEP_2) | instskip(NEXT) | instid1(VALU_DEP_1)
	v_and_b32_e32 v96, 0x80000000, v96
	v_xor_b32_e32 v25, v25, v96
	v_mul_f64 v[96:97], v[94:95], v[94:95]
	s_delay_alu instid0(VALU_DEP_2) | instskip(NEXT) | instid1(VALU_DEP_1)
	v_cndmask_b32_e64 v122, 0x7ff80000, v25, s0
	v_mul_f64 v[100:101], v[121:122], v[121:122]
	s_delay_alu instid0(VALU_DEP_1) | instskip(NEXT) | instid1(VALU_DEP_1)
	v_fma_f64 v[105:106], v[6:7], v[100:101], v[96:97]
	v_div_scale_f64 v[100:101], null, v[105:106], v[105:106], 1.0
	s_delay_alu instid0(VALU_DEP_1) | instskip(SKIP_2) | instid1(VALU_DEP_1)
	v_rcp_f64_e32 v[102:103], v[100:101]
	s_waitcnt_depctr 0xfff
	v_fma_f64 v[107:108], -v[100:101], v[102:103], 1.0
	v_fma_f64 v[102:103], v[102:103], v[107:108], v[102:103]
	s_delay_alu instid0(VALU_DEP_1) | instskip(NEXT) | instid1(VALU_DEP_1)
	v_fma_f64 v[107:108], -v[100:101], v[102:103], 1.0
	v_fma_f64 v[102:103], v[102:103], v[107:108], v[102:103]
	v_div_scale_f64 v[107:108], vcc_lo, 1.0, v[105:106], 1.0
	s_delay_alu instid0(VALU_DEP_1) | instskip(NEXT) | instid1(VALU_DEP_1)
	v_mul_f64 v[115:116], v[107:108], v[102:103]
	v_fma_f64 v[100:101], -v[100:101], v[115:116], v[107:108]
	s_delay_alu instid0(VALU_DEP_1) | instskip(NEXT) | instid1(VALU_DEP_1)
	v_div_fmas_f64 v[100:101], v[100:101], v[102:103], v[115:116]
                                        ; implicit-def: $vgpr103_vgpr104
	v_div_fixup_f64 v[107:108], v[100:101], v[105:106], 1.0
                                        ; implicit-def: $vgpr101_vgpr102
	s_delay_alu instid0(VALU_DEP_1) | instskip(NEXT) | instid1(VALU_DEP_1)
	v_mul_f64 v[72:73], v[107:108], -v[72:73]
	v_mul_f64 v[72:73], v[36:37], v[72:73]
	s_delay_alu instid0(VALU_DEP_1) | instskip(NEXT) | instid1(VALU_DEP_1)
	v_fma_f64 v[99:100], v[72:73], s[48:49], v[98:99]
	v_cmp_ngt_f64_e64 s28, 0x41d00000, |v[99:100]|
	v_trig_preop_f64 v[127:128], |v[99:100]|, 0
	v_trig_preop_f64 v[119:120], |v[99:100]|, 1
	v_ldexp_f64 v[129:130], |v[99:100]|, 0xffffff80
	v_trig_preop_f64 v[115:116], |v[99:100]|, 2
	v_and_b32_e32 v76, 0x7fffffff, v100
	s_and_saveexec_b32 s1, s28
	s_delay_alu instid0(SALU_CYCLE_1)
	s_xor_b32 s38, exec_lo, s1
	s_cbranch_execz .LBB0_116
; %bb.115:                              ;   in Loop: Header=BB0_90 Depth=2
	v_cmp_le_f64_e64 vcc_lo, 0x7b000000, |v[99:100]|
	s_mov_b32 s2, s88
	s_mov_b32 s93, s91
	s_delay_alu instid0(VALU_DEP_4) | instskip(NEXT) | instid1(VALU_DEP_1)
	v_dual_cndmask_b32 v102, v76, v130 :: v_dual_cndmask_b32 v101, v99, v129
	v_mul_f64 v[103:104], v[127:128], v[101:102]
	v_mul_f64 v[123:124], v[119:120], v[101:102]
	s_delay_alu instid0(VALU_DEP_2) | instskip(NEXT) | instid1(VALU_DEP_1)
	v_fma_f64 v[125:126], v[127:128], v[101:102], -v[103:104]
	v_add_f64 v[132:133], v[123:124], v[125:126]
	s_delay_alu instid0(VALU_DEP_1) | instskip(NEXT) | instid1(VALU_DEP_1)
	v_add_f64 v[134:135], v[132:133], -v[123:124]
	v_add_f64 v[125:126], v[125:126], -v[134:135]
	;; [unrolled: 1-line block ×3, first 2 shown]
	s_delay_alu instid0(VALU_DEP_1) | instskip(SKIP_1) | instid1(VALU_DEP_2)
	v_add_f64 v[134:135], v[123:124], -v[134:135]
	v_fma_f64 v[123:124], v[119:120], v[101:102], -v[123:124]
	v_add_f64 v[125:126], v[125:126], v[134:135]
	v_mul_f64 v[134:135], v[115:116], v[101:102]
	s_delay_alu instid0(VALU_DEP_1) | instskip(SKIP_1) | instid1(VALU_DEP_2)
	v_add_f64 v[136:137], v[134:135], v[123:124]
	v_fma_f64 v[101:102], v[115:116], v[101:102], -v[134:135]
	v_add_f64 v[138:139], v[136:137], -v[134:135]
	s_delay_alu instid0(VALU_DEP_1) | instskip(SKIP_1) | instid1(VALU_DEP_1)
	v_add_f64 v[123:124], v[123:124], -v[138:139]
	v_add_f64 v[138:139], v[136:137], -v[138:139]
	;; [unrolled: 1-line block ×3, first 2 shown]
	s_delay_alu instid0(VALU_DEP_1) | instskip(SKIP_1) | instid1(VALU_DEP_1)
	v_add_f64 v[123:124], v[123:124], v[138:139]
	v_add_f64 v[138:139], v[136:137], v[125:126]
	v_add_f64 v[140:141], v[138:139], -v[136:137]
	s_delay_alu instid0(VALU_DEP_1) | instskip(SKIP_1) | instid1(VALU_DEP_1)
	v_add_f64 v[125:126], v[125:126], -v[140:141]
	v_add_f64 v[140:141], v[138:139], -v[140:141]
	v_add_f64 v[136:137], v[136:137], -v[140:141]
	v_add_f64 v[140:141], v[103:104], v[132:133]
	s_delay_alu instid0(VALU_DEP_2) | instskip(NEXT) | instid1(VALU_DEP_2)
	v_add_f64 v[125:126], v[125:126], v[136:137]
	v_add_f64 v[103:104], v[140:141], -v[103:104]
	v_ldexp_f64 v[140:141], v[140:141], -2
	s_delay_alu instid0(VALU_DEP_3) | instskip(NEXT) | instid1(VALU_DEP_3)
	v_add_f64 v[123:124], v[123:124], v[125:126]
	v_add_f64 v[103:104], v[132:133], -v[103:104]
	s_delay_alu instid0(VALU_DEP_3) | instskip(SKIP_1) | instid1(VALU_DEP_4)
	v_fract_f64_e32 v[142:143], v[140:141]
	v_cmp_neq_f64_e64 vcc_lo, 0x7ff00000, |v[140:141]|
	v_add_f64 v[101:102], v[101:102], v[123:124]
	s_delay_alu instid0(VALU_DEP_4) | instskip(NEXT) | instid1(VALU_DEP_4)
	v_add_f64 v[125:126], v[103:104], v[138:139]
	v_dual_cndmask_b32 v133, 0, v143 :: v_dual_cndmask_b32 v132, 0, v142
	s_delay_alu instid0(VALU_DEP_1) | instskip(NEXT) | instid1(VALU_DEP_3)
	v_ldexp_f64 v[123:124], v[132:133], 2
	v_add_f64 v[103:104], v[125:126], -v[103:104]
	s_delay_alu instid0(VALU_DEP_2) | instskip(NEXT) | instid1(VALU_DEP_2)
	v_add_f64 v[132:133], v[125:126], v[123:124]
	v_add_f64 v[103:104], v[138:139], -v[103:104]
	s_delay_alu instid0(VALU_DEP_2) | instskip(NEXT) | instid1(VALU_DEP_2)
	v_cmp_gt_f64_e32 vcc_lo, 0, v[132:133]
	v_add_f64 v[101:102], v[103:104], v[101:102]
	v_cndmask_b32_e64 v25, 0, 0x40100000, vcc_lo
	s_delay_alu instid0(VALU_DEP_1) | instskip(NEXT) | instid1(VALU_DEP_1)
	v_add_f64 v[123:124], v[123:124], v[24:25]
	v_add_f64 v[132:133], v[125:126], v[123:124]
	s_delay_alu instid0(VALU_DEP_1) | instskip(NEXT) | instid1(VALU_DEP_1)
	v_cvt_i32_f64_e32 v25, v[132:133]
	v_cvt_f64_i32_e32 v[132:133], v25
	s_delay_alu instid0(VALU_DEP_1) | instskip(NEXT) | instid1(VALU_DEP_1)
	v_add_f64 v[123:124], v[123:124], -v[132:133]
	v_add_f64 v[103:104], v[125:126], v[123:124]
	s_delay_alu instid0(VALU_DEP_1) | instskip(SKIP_1) | instid1(VALU_DEP_2)
	v_add_f64 v[123:124], v[103:104], -v[123:124]
	v_cmp_le_f64_e32 vcc_lo, 0.5, v[103:104]
	v_add_f64 v[123:124], v[125:126], -v[123:124]
	v_add_co_ci_u32_e64 v146, s1, 0, v25, vcc_lo
	v_cndmask_b32_e64 v25, 0, 0x3ff00000, vcc_lo
	s_delay_alu instid0(VALU_DEP_1) | instskip(NEXT) | instid1(VALU_DEP_4)
	v_add_f64 v[103:104], v[103:104], -v[24:25]
	v_add_f64 v[101:102], v[101:102], v[123:124]
	s_delay_alu instid0(VALU_DEP_1) | instskip(NEXT) | instid1(VALU_DEP_1)
	v_add_f64 v[123:124], v[103:104], v[101:102]
	v_add_f64 v[103:104], v[123:124], -v[103:104]
	s_delay_alu instid0(VALU_DEP_1) | instskip(SKIP_1) | instid1(VALU_DEP_1)
	v_add_f64 v[101:102], v[101:102], -v[103:104]
	v_mul_f64 v[103:104], v[123:124], s[2:3]
	v_fma_f64 v[125:126], v[123:124], s[2:3], -v[103:104]
	s_delay_alu instid0(VALU_DEP_1) | instskip(NEXT) | instid1(VALU_DEP_1)
	v_fma_f64 v[123:124], v[123:124], s[92:93], v[125:126]
	v_fma_f64 v[123:124], v[101:102], s[2:3], v[123:124]
	s_delay_alu instid0(VALU_DEP_1) | instskip(NEXT) | instid1(VALU_DEP_1)
	v_add_f64 v[101:102], v[103:104], v[123:124]
	v_add_f64 v[103:104], v[101:102], -v[103:104]
	s_delay_alu instid0(VALU_DEP_1)
	v_add_f64 v[103:104], v[123:124], -v[103:104]
	s_and_not1_saveexec_b32 s1, s38
	s_cbranch_execz .LBB0_118
	s_branch .LBB0_117
.LBB0_116:                              ;   in Loop: Header=BB0_90 Depth=2
	s_and_not1_saveexec_b32 s1, s38
	s_cbranch_execz .LBB0_118
.LBB0_117:                              ;   in Loop: Header=BB0_90 Depth=2
	v_mul_f64 v[101:102], |v[99:100]|, s[94:95]
	s_mov_b32 s90, s96
	s_delay_alu instid0(VALU_DEP_1) | instskip(NEXT) | instid1(VALU_DEP_1)
	v_rndne_f64_e32 v[123:124], v[101:102]
	v_fma_f64 v[101:102], v[123:124], s[88:89], |v[99:100]|
	v_mul_f64 v[103:104], v[123:124], s[96:97]
	v_cvt_i32_f64_e32 v146, v[123:124]
	s_delay_alu instid0(VALU_DEP_3) | instskip(NEXT) | instid1(VALU_DEP_3)
	v_fma_f64 v[132:133], v[123:124], s[96:97], v[101:102]
	v_add_f64 v[125:126], v[101:102], v[103:104]
	s_delay_alu instid0(VALU_DEP_1) | instskip(NEXT) | instid1(VALU_DEP_3)
	v_add_f64 v[101:102], v[101:102], -v[125:126]
	v_add_f64 v[125:126], v[125:126], -v[132:133]
	s_delay_alu instid0(VALU_DEP_2) | instskip(SKIP_1) | instid1(VALU_DEP_2)
	v_add_f64 v[101:102], v[101:102], v[103:104]
	v_fma_f64 v[103:104], v[123:124], s[90:91], v[103:104]
	v_add_f64 v[101:102], v[125:126], v[101:102]
	s_delay_alu instid0(VALU_DEP_1) | instskip(NEXT) | instid1(VALU_DEP_1)
	v_add_f64 v[101:102], v[101:102], -v[103:104]
	v_fma_f64 v[103:104], v[123:124], s[98:99], v[101:102]
	s_delay_alu instid0(VALU_DEP_1) | instskip(NEXT) | instid1(VALU_DEP_1)
	v_add_f64 v[101:102], v[132:133], v[103:104]
	v_add_f64 v[125:126], v[101:102], -v[132:133]
	s_delay_alu instid0(VALU_DEP_1)
	v_add_f64 v[103:104], v[103:104], -v[125:126]
.LBB0_118:                              ;   in Loop: Header=BB0_90 Depth=2
	s_or_b32 exec_lo, exec_lo, s1
                                        ; implicit-def: $vgpr98
                                        ; implicit-def: $vgpr123_vgpr124
                                        ; implicit-def: $vgpr125_vgpr126
	s_and_saveexec_b32 s1, s28
	s_delay_alu instid0(SALU_CYCLE_1)
	s_xor_b32 s28, exec_lo, s1
	s_cbranch_execz .LBB0_120
; %bb.119:                              ;   in Loop: Header=BB0_90 Depth=2
	v_cmp_le_f64_e64 vcc_lo, 0x7b000000, |v[99:100]|
	s_mov_b32 s2, s88
	s_mov_b32 s93, s91
	s_delay_alu instid0(VALU_DEP_4) | instskip(NEXT) | instid1(VALU_DEP_1)
	v_dual_cndmask_b32 v124, v76, v130 :: v_dual_cndmask_b32 v123, v99, v129
	v_mul_f64 v[125:126], v[127:128], v[123:124]
	v_mul_f64 v[129:130], v[119:120], v[123:124]
	v_mul_f64 v[132:133], v[115:116], v[123:124]
	s_delay_alu instid0(VALU_DEP_3) | instskip(NEXT) | instid1(VALU_DEP_3)
	v_fma_f64 v[127:128], v[127:128], v[123:124], -v[125:126]
	v_fma_f64 v[119:120], v[119:120], v[123:124], -v[129:130]
	s_delay_alu instid0(VALU_DEP_3) | instskip(NEXT) | instid1(VALU_DEP_3)
	v_fma_f64 v[115:116], v[115:116], v[123:124], -v[132:133]
	v_add_f64 v[134:135], v[129:130], v[127:128]
	s_delay_alu instid0(VALU_DEP_1) | instskip(NEXT) | instid1(VALU_DEP_1)
	v_add_f64 v[123:124], v[134:135], -v[129:130]
	v_add_f64 v[127:128], v[127:128], -v[123:124]
	;; [unrolled: 1-line block ×3, first 2 shown]
	s_delay_alu instid0(VALU_DEP_1) | instskip(SKIP_1) | instid1(VALU_DEP_2)
	v_add_f64 v[123:124], v[129:130], -v[123:124]
	v_add_f64 v[129:130], v[125:126], v[134:135]
	v_add_f64 v[123:124], v[127:128], v[123:124]
	s_delay_alu instid0(VALU_DEP_2) | instskip(SKIP_1) | instid1(VALU_DEP_2)
	v_add_f64 v[125:126], v[129:130], -v[125:126]
	v_ldexp_f64 v[129:130], v[129:130], -2
	v_add_f64 v[125:126], v[134:135], -v[125:126]
	v_add_f64 v[134:135], v[132:133], v[119:120]
	s_delay_alu instid0(VALU_DEP_3) | instskip(SKIP_1) | instid1(VALU_DEP_3)
	v_fract_f64_e32 v[127:128], v[129:130]
	v_cmp_neq_f64_e64 vcc_lo, 0x7ff00000, |v[129:130]|
	v_add_f64 v[129:130], v[134:135], -v[132:133]
	s_delay_alu instid0(VALU_DEP_3) | instskip(NEXT) | instid1(VALU_DEP_1)
	v_dual_cndmask_b32 v128, 0, v128 :: v_dual_cndmask_b32 v127, 0, v127
	v_ldexp_f64 v[127:128], v[127:128], 2
	s_delay_alu instid0(VALU_DEP_3) | instskip(SKIP_1) | instid1(VALU_DEP_1)
	v_add_f64 v[119:120], v[119:120], -v[129:130]
	v_add_f64 v[129:130], v[134:135], -v[129:130]
	;; [unrolled: 1-line block ×3, first 2 shown]
	v_add_f64 v[132:133], v[134:135], v[123:124]
	s_delay_alu instid0(VALU_DEP_2) | instskip(NEXT) | instid1(VALU_DEP_2)
	v_add_f64 v[119:120], v[119:120], v[129:130]
	v_add_f64 v[129:130], v[132:133], -v[134:135]
	s_delay_alu instid0(VALU_DEP_1) | instskip(SKIP_1) | instid1(VALU_DEP_1)
	v_add_f64 v[123:124], v[123:124], -v[129:130]
	v_add_f64 v[129:130], v[132:133], -v[129:130]
	;; [unrolled: 1-line block ×3, first 2 shown]
	v_add_f64 v[134:135], v[125:126], v[132:133]
	s_delay_alu instid0(VALU_DEP_2) | instskip(NEXT) | instid1(VALU_DEP_2)
	v_add_f64 v[123:124], v[123:124], v[129:130]
	v_add_f64 v[136:137], v[134:135], v[127:128]
	v_add_f64 v[125:126], v[134:135], -v[125:126]
	s_delay_alu instid0(VALU_DEP_3) | instskip(NEXT) | instid1(VALU_DEP_3)
	v_add_f64 v[119:120], v[119:120], v[123:124]
	v_cmp_gt_f64_e32 vcc_lo, 0, v[136:137]
	s_delay_alu instid0(VALU_DEP_3) | instskip(NEXT) | instid1(VALU_DEP_3)
	v_add_f64 v[125:126], v[132:133], -v[125:126]
	v_add_f64 v[115:116], v[115:116], v[119:120]
	v_cndmask_b32_e64 v25, 0, 0x40100000, vcc_lo
	s_delay_alu instid0(VALU_DEP_1) | instskip(NEXT) | instid1(VALU_DEP_3)
	v_add_f64 v[127:128], v[127:128], v[24:25]
	v_add_f64 v[115:116], v[125:126], v[115:116]
	s_delay_alu instid0(VALU_DEP_2) | instskip(NEXT) | instid1(VALU_DEP_1)
	v_add_f64 v[129:130], v[134:135], v[127:128]
	v_cvt_i32_f64_e32 v25, v[129:130]
	s_delay_alu instid0(VALU_DEP_1) | instskip(NEXT) | instid1(VALU_DEP_1)
	v_cvt_f64_i32_e32 v[129:130], v25
	v_add_f64 v[127:128], v[127:128], -v[129:130]
	s_delay_alu instid0(VALU_DEP_1) | instskip(NEXT) | instid1(VALU_DEP_1)
	v_add_f64 v[123:124], v[134:135], v[127:128]
	v_add_f64 v[119:120], v[123:124], -v[127:128]
	v_cmp_le_f64_e32 vcc_lo, 0.5, v[123:124]
	s_delay_alu instid0(VALU_DEP_2) | instskip(SKIP_2) | instid1(VALU_DEP_3)
	v_add_f64 v[119:120], v[134:135], -v[119:120]
	v_add_co_ci_u32_e64 v98, s1, 0, v25, vcc_lo
	v_cndmask_b32_e64 v25, 0, 0x3ff00000, vcc_lo
	v_add_f64 v[115:116], v[115:116], v[119:120]
	s_delay_alu instid0(VALU_DEP_2) | instskip(NEXT) | instid1(VALU_DEP_1)
	v_add_f64 v[119:120], v[123:124], -v[24:25]
	v_add_f64 v[123:124], v[119:120], v[115:116]
	s_delay_alu instid0(VALU_DEP_1) | instskip(SKIP_1) | instid1(VALU_DEP_2)
	v_mul_f64 v[125:126], v[123:124], s[2:3]
	v_add_f64 v[119:120], v[123:124], -v[119:120]
	v_fma_f64 v[127:128], v[123:124], s[2:3], -v[125:126]
	s_delay_alu instid0(VALU_DEP_2) | instskip(NEXT) | instid1(VALU_DEP_2)
	v_add_f64 v[115:116], v[115:116], -v[119:120]
	v_fma_f64 v[119:120], v[123:124], s[92:93], v[127:128]
	s_delay_alu instid0(VALU_DEP_1) | instskip(NEXT) | instid1(VALU_DEP_1)
	v_fma_f64 v[115:116], v[115:116], s[2:3], v[119:120]
	v_add_f64 v[123:124], v[125:126], v[115:116]
	s_delay_alu instid0(VALU_DEP_1) | instskip(NEXT) | instid1(VALU_DEP_1)
	v_add_f64 v[119:120], v[123:124], -v[125:126]
	v_add_f64 v[125:126], v[115:116], -v[119:120]
	s_and_not1_saveexec_b32 s1, s28
	s_cbranch_execnz .LBB0_121
	s_branch .LBB0_122
.LBB0_120:                              ;   in Loop: Header=BB0_90 Depth=2
	s_and_not1_saveexec_b32 s1, s28
	s_cbranch_execz .LBB0_122
.LBB0_121:                              ;   in Loop: Header=BB0_90 Depth=2
	v_mul_f64 v[115:116], |v[99:100]|, s[94:95]
	s_mov_b32 s90, s96
	s_delay_alu instid0(VALU_DEP_1) | instskip(NEXT) | instid1(VALU_DEP_1)
	v_rndne_f64_e32 v[115:116], v[115:116]
	v_fma_f64 v[119:120], v[115:116], s[88:89], |v[99:100]|
	v_mul_f64 v[123:124], v[115:116], s[96:97]
	v_cvt_i32_f64_e32 v98, v[115:116]
	s_delay_alu instid0(VALU_DEP_3) | instskip(NEXT) | instid1(VALU_DEP_3)
	v_fma_f64 v[127:128], v[115:116], s[96:97], v[119:120]
	v_add_f64 v[125:126], v[119:120], v[123:124]
	s_delay_alu instid0(VALU_DEP_1) | instskip(NEXT) | instid1(VALU_DEP_3)
	v_add_f64 v[119:120], v[119:120], -v[125:126]
	v_add_f64 v[125:126], v[125:126], -v[127:128]
	s_delay_alu instid0(VALU_DEP_2) | instskip(SKIP_1) | instid1(VALU_DEP_2)
	v_add_f64 v[119:120], v[119:120], v[123:124]
	v_fma_f64 v[123:124], v[115:116], s[90:91], v[123:124]
	v_add_f64 v[119:120], v[125:126], v[119:120]
	s_delay_alu instid0(VALU_DEP_1) | instskip(NEXT) | instid1(VALU_DEP_1)
	v_add_f64 v[119:120], v[119:120], -v[123:124]
	v_fma_f64 v[119:120], v[115:116], s[98:99], v[119:120]
	s_delay_alu instid0(VALU_DEP_1) | instskip(NEXT) | instid1(VALU_DEP_1)
	v_add_f64 v[123:124], v[127:128], v[119:120]
	v_add_f64 v[125:126], v[123:124], -v[127:128]
	s_delay_alu instid0(VALU_DEP_1)
	v_add_f64 v[125:126], v[119:120], -v[125:126]
.LBB0_122:                              ;   in Loop: Header=BB0_90 Depth=2
	s_or_b32 exec_lo, exec_lo, s1
	v_fma_f64 v[119:120], v[62:63], s[46:47], v[2:3]
	v_mul_f64 v[117:118], v[117:118], v[84:85]
	s_mov_b32 vcc_lo, s44
	v_fma_f64 v[127:128], v[34:35], s[52:53], v[4:5]
	v_fma_f64 v[129:130], v[64:65], vcc, v[16:17]
	v_fma_f64 v[132:133], v[60:61], s[46:47], v[18:19]
	s_mov_b32 s40, s42
	v_add_f64 v[115:116], v[78:79], v[78:79]
	v_add_f64 v[88:89], v[6:7], v[88:89]
	v_add_f64 v[78:79], v[78:79], -1.0
	s_mov_b32 s38, s44
	s_mov_b32 s28, s16
	;; [unrolled: 1-line block ×3, first 2 shown]
                                        ; implicit-def: $vgpr148
	v_fma_f64 v[134:135], 0x40040000, v[80:81], v[119:120]
	v_div_scale_f64 v[119:120], null, v[117:118], v[117:118], 1.0
	v_fma_f64 v[74:75], 0x3fd5e000, v[74:75], v[127:128]
	v_fma_f64 v[127:128], v[86:87], s[40:41], v[129:130]
	;; [unrolled: 1-line block ×3, first 2 shown]
	s_delay_alu instid0(VALU_DEP_4) | instskip(SKIP_2) | instid1(VALU_DEP_1)
	v_rcp_f64_e32 v[132:133], v[119:120]
	s_waitcnt_depctr 0xfff
	v_fma_f64 v[136:137], -v[119:120], v[132:133], 1.0
	v_fma_f64 v[132:133], v[132:133], v[136:137], v[132:133]
	s_delay_alu instid0(VALU_DEP_1) | instskip(NEXT) | instid1(VALU_DEP_1)
	v_fma_f64 v[136:137], -v[119:120], v[132:133], 1.0
	v_fma_f64 v[132:133], v[132:133], v[136:137], v[132:133]
	v_div_scale_f64 v[136:137], vcc_lo, 1.0, v[117:118], 1.0
	s_delay_alu instid0(VALU_DEP_1) | instskip(NEXT) | instid1(VALU_DEP_1)
	v_mul_f64 v[138:139], v[136:137], v[132:133]
	v_fma_f64 v[119:120], -v[119:120], v[138:139], v[136:137]
	s_delay_alu instid0(VALU_DEP_1) | instskip(SKIP_1) | instid1(VALU_DEP_2)
	v_div_fmas_f64 v[119:120], v[119:120], v[132:133], v[138:139]
	v_add_f64 v[132:133], v[113:114], v[113:114]
	v_div_fixup_f64 v[117:118], v[119:120], v[117:118], 1.0
	v_mul_f64 v[119:120], v[115:116], v[88:89]
	s_delay_alu instid0(VALU_DEP_3) | instskip(NEXT) | instid1(VALU_DEP_2)
	v_mul_f64 v[113:114], v[113:114], v[132:133]
	v_fma_f64 v[88:89], -v[22:23], v[78:79], v[119:120]
	s_delay_alu instid0(VALU_DEP_2) | instskip(NEXT) | instid1(VALU_DEP_2)
	v_mul_f64 v[78:79], v[78:79], v[113:114]
	v_add_f64 v[88:89], v[88:89], -v[28:29]
	s_delay_alu instid0(VALU_DEP_2) | instskip(SKIP_1) | instid1(VALU_DEP_2)
	v_mul_f64 v[78:79], v[78:79], v[90:91]
	v_fma_f64 v[90:91], v[66:67], s[60:61], v[74:75]
	v_fma_f64 v[78:79], v[88:89], v[117:118], -v[78:79]
	v_fma_f64 v[88:89], v[70:71], s[50:51], v[134:135]
	v_mul_f64 v[134:135], v[111:112], 0.5
	s_delay_alu instid0(VALU_DEP_3) | instskip(SKIP_1) | instid1(VALU_DEP_2)
	v_mul_f64 v[74:75], v[36:37], -v[78:79]
	v_mul_f64 v[78:79], v[109:110], v[109:110]
	v_fma_f64 v[113:114], v[74:75], s[38:39], v[127:128]
	s_delay_alu instid0(VALU_DEP_2)
	v_fma_f64 v[132:133], v[78:79], s[20:21], s[18:19]
	v_fma_f64 v[127:128], v[68:69], s[50:51], v[129:130]
	v_mul_f64 v[129:130], v[109:110], -v[78:79]
	v_fma_f64 v[138:139], v[78:79], s[6:7], s[4:5]
	v_mul_f64 v[136:137], v[78:79], v[78:79]
	v_fma_f64 v[132:133], v[78:79], v[132:133], s[22:23]
	s_delay_alu instid0(VALU_DEP_3) | instskip(NEXT) | instid1(VALU_DEP_2)
	v_fma_f64 v[138:139], v[78:79], v[138:139], s[10:11]
	v_fma_f64 v[132:133], v[78:79], v[132:133], s[24:25]
	s_delay_alu instid0(VALU_DEP_2) | instskip(NEXT) | instid1(VALU_DEP_2)
	v_fma_f64 v[138:139], v[78:79], v[138:139], s[12:13]
	v_fma_f64 v[132:133], v[78:79], v[132:133], s[26:27]
	s_delay_alu instid0(VALU_DEP_2) | instskip(NEXT) | instid1(VALU_DEP_2)
	v_fma_f64 v[138:139], v[78:79], v[138:139], s[14:15]
	v_fma_f64 v[132:133], v[129:130], v[132:133], v[134:135]
	s_delay_alu instid0(VALU_DEP_1) | instskip(NEXT) | instid1(VALU_DEP_1)
	v_fma_f64 v[132:133], v[78:79], v[132:133], -v[111:112]
	v_fma_f64 v[129:130], v[129:130], s[28:29], v[132:133]
	v_mul_f64 v[132:133], v[78:79], 0.5
	v_fma_f64 v[78:79], v[78:79], v[138:139], s[16:17]
	s_delay_alu instid0(VALU_DEP_3) | instskip(NEXT) | instid1(VALU_DEP_3)
	v_add_f64 v[129:130], v[109:110], -v[129:130]
	v_add_f64 v[134:135], -v[132:133], 1.0
	s_delay_alu instid0(VALU_DEP_1) | instskip(NEXT) | instid1(VALU_DEP_1)
	v_add_f64 v[138:139], -v[134:135], 1.0
	v_add_f64 v[132:133], v[138:139], -v[132:133]
	s_delay_alu instid0(VALU_DEP_1) | instskip(NEXT) | instid1(VALU_DEP_1)
	v_fma_f64 v[109:110], v[109:110], -v[111:112], v[132:133]
	v_fma_f64 v[78:79], v[136:137], v[78:79], v[109:110]
	s_delay_alu instid0(VALU_DEP_1) | instskip(SKIP_1) | instid1(VALU_DEP_1)
	v_add_f64 v[78:79], v[134:135], v[78:79]
	v_and_b32_e32 v25, 1, v131
	v_cmp_eq_u32_e32 vcc_lo, 0, v25
	s_delay_alu instid0(VALU_DEP_3) | instskip(SKIP_1) | instid1(VALU_DEP_1)
	v_dual_cndmask_b32 v76, v79, v130 :: v_dual_cndmask_b32 v25, v78, v129
	v_lshlrev_b32_e32 v78, 30, v131
	v_xor_b32_e32 v77, v78, v77
	s_delay_alu instid0(VALU_DEP_1) | instskip(NEXT) | instid1(VALU_DEP_1)
	v_and_b32_e32 v77, 0x80000000, v77
	v_xor_b32_e32 v77, v76, v77
	v_cndmask_b32_e64 v76, 0, v25, s0
	s_delay_alu instid0(VALU_DEP_2) | instskip(SKIP_3) | instid1(VALU_DEP_4)
	v_cndmask_b32_e64 v77, 0x7ff80000, v77, s0
	v_cmp_class_f64_e64 s0, v[99:100], 0x1f8
	v_and_b32_e32 v99, 1, v98
	v_lshlrev_b32_e32 v98, 30, v98
	v_mul_f64 v[78:79], v[76:77], v[76:77]
	v_cmp_gt_f64_e32 vcc_lo, s[100:101], v[76:77]
	s_delay_alu instid0(VALU_DEP_3) | instskip(NEXT) | instid1(VALU_DEP_3)
	v_and_b32_e32 v98, 0x80000000, v98
	v_cndmask_b32_e64 v134, v79, 0x3c9cd2b2, vcc_lo
	s_delay_alu instid0(VALU_DEP_4) | instskip(SKIP_3) | instid1(VALU_DEP_4)
	v_cndmask_b32_e64 v133, v78, 0x97d889bc, vcc_lo
	v_cndmask_b32_e64 v77, v77, 0x3e45798e, vcc_lo
	;; [unrolled: 1-line block ×3, first 2 shown]
	v_fma_f64 v[78:79], v[94:95], -2.0, v[96:97]
	v_mul_f64 v[109:110], v[133:134], v[133:134]
	s_delay_alu instid0(VALU_DEP_3) | instskip(NEXT) | instid1(VALU_DEP_3)
	v_mul_f64 v[76:77], -v[76:77], v[121:122]
	v_add_f64 v[135:136], v[6:7], v[78:79]
	s_delay_alu instid0(VALU_DEP_3) | instskip(NEXT) | instid1(VALU_DEP_2)
	v_div_scale_f64 v[111:112], null, v[109:110], v[109:110], v[20:21]
	v_mul_f64 v[78:79], v[135:136], -v[113:114]
	s_delay_alu instid0(VALU_DEP_2) | instskip(NEXT) | instid1(VALU_DEP_1)
	v_rcp_f64_e32 v[121:122], v[111:112]
	v_mul_f64 v[78:79], v[78:79], v[107:108]
	s_waitcnt_depctr 0xfff
	v_fma_f64 v[129:130], -v[111:112], v[121:122], 1.0
	v_mul_f64 v[78:79], v[36:37], v[78:79]
	s_delay_alu instid0(VALU_DEP_2) | instskip(NEXT) | instid1(VALU_DEP_1)
	v_fma_f64 v[121:122], v[121:122], v[129:130], v[121:122]
	v_fma_f64 v[129:130], -v[111:112], v[121:122], 1.0
	s_delay_alu instid0(VALU_DEP_1) | instskip(SKIP_1) | instid1(VALU_DEP_1)
	v_fma_f64 v[121:122], v[121:122], v[129:130], v[121:122]
	v_div_scale_f64 v[129:130], vcc_lo, v[20:21], v[109:110], v[20:21]
	v_mul_f64 v[131:132], v[129:130], v[121:122]
	s_delay_alu instid0(VALU_DEP_1) | instskip(NEXT) | instid1(VALU_DEP_1)
	v_fma_f64 v[111:112], -v[111:112], v[131:132], v[129:130]
	v_div_fmas_f64 v[111:112], v[111:112], v[121:122], v[131:132]
	v_cmp_eq_u32_e32 vcc_lo, 0, v99
	s_delay_alu instid0(VALU_DEP_2) | instskip(SKIP_2) | instid1(VALU_DEP_3)
	v_div_fixup_f64 v[109:110], v[111:112], v[109:110], v[20:21]
	v_fma_f64 v[111:112], v[78:79], s[48:49], v[88:89]
	v_fma_f64 v[88:89], v[72:73], s[62:63], v[90:91]
	v_add_f64 v[109:110], v[109:110], -v[6:7]
	s_delay_alu instid0(VALU_DEP_1) | instskip(SKIP_1) | instid1(VALU_DEP_2)
	v_mul_f64 v[76:77], v[109:110], v[76:77]
	v_mul_f64 v[109:110], v[123:124], v[123:124]
	;; [unrolled: 1-line block ×3, first 2 shown]
	s_delay_alu instid0(VALU_DEP_2) | instskip(SKIP_1) | instid1(VALU_DEP_3)
	v_mul_f64 v[121:122], v[109:110], 0.5
	v_fma_f64 v[131:132], v[109:110], s[6:7], s[4:5]
	v_mul_f64 v[76:77], v[36:37], v[76:77]
	s_delay_alu instid0(VALU_DEP_2) | instskip(NEXT) | instid1(VALU_DEP_2)
	v_fma_f64 v[131:132], v[109:110], v[131:132], s[10:11]
	v_fma_f64 v[90:91], v[76:77], s[48:49], v[127:128]
	v_add_f64 v[127:128], -v[121:122], 1.0
	s_delay_alu instid0(VALU_DEP_3) | instskip(NEXT) | instid1(VALU_DEP_2)
	v_fma_f64 v[131:132], v[109:110], v[131:132], s[12:13]
	v_add_f64 v[129:130], -v[127:128], 1.0
	s_delay_alu instid0(VALU_DEP_2) | instskip(NEXT) | instid1(VALU_DEP_2)
	v_fma_f64 v[131:132], v[109:110], v[131:132], s[14:15]
	v_add_f64 v[121:122], v[129:130], -v[121:122]
	v_mul_f64 v[129:130], v[109:110], v[109:110]
	s_delay_alu instid0(VALU_DEP_3) | instskip(NEXT) | instid1(VALU_DEP_3)
	v_fma_f64 v[131:132], v[109:110], v[131:132], s[16:17]
	v_fma_f64 v[121:122], v[123:124], -v[125:126], v[121:122]
	s_delay_alu instid0(VALU_DEP_1) | instskip(SKIP_2) | instid1(VALU_DEP_3)
	v_fma_f64 v[121:122], v[129:130], v[131:132], v[121:122]
	v_mul_f64 v[129:130], v[123:124], -v[109:110]
	v_mul_f64 v[131:132], v[125:126], 0.5
	v_add_f64 v[121:122], v[127:128], v[121:122]
	v_fma_f64 v[127:128], v[109:110], s[20:21], s[18:19]
	s_delay_alu instid0(VALU_DEP_1) | instskip(NEXT) | instid1(VALU_DEP_1)
	v_fma_f64 v[127:128], v[109:110], v[127:128], s[22:23]
	v_fma_f64 v[127:128], v[109:110], v[127:128], s[24:25]
	s_delay_alu instid0(VALU_DEP_1) | instskip(NEXT) | instid1(VALU_DEP_1)
	v_fma_f64 v[127:128], v[109:110], v[127:128], s[26:27]
	v_fma_f64 v[127:128], v[129:130], v[127:128], v[131:132]
	v_mul_f64 v[131:132], v[111:112], v[111:112]
	s_delay_alu instid0(VALU_DEP_2) | instskip(NEXT) | instid1(VALU_DEP_1)
	v_fma_f64 v[109:110], v[109:110], v[127:128], -v[125:126]
                                        ; implicit-def: $vgpr125_vgpr126
                                        ; implicit-def: $vgpr127_vgpr128
	v_fma_f64 v[109:110], v[129:130], s[28:29], v[109:110]
	s_delay_alu instid0(VALU_DEP_1) | instskip(NEXT) | instid1(VALU_DEP_1)
	v_add_f64 v[109:110], v[123:124], -v[109:110]
	v_xor_b32_e32 v25, 0x80000000, v110
	s_delay_alu instid0(VALU_DEP_2) | instskip(NEXT) | instid1(VALU_DEP_2)
	v_cndmask_b32_e32 v99, v109, v121, vcc_lo
	v_cndmask_b32_e32 v25, v25, v122, vcc_lo
	s_delay_alu instid0(VALU_DEP_2) | instskip(NEXT) | instid1(VALU_DEP_2)
	v_cndmask_b32_e64 v129, 0, v99, s0
	v_xor_b32_e32 v25, v25, v98
	s_delay_alu instid0(VALU_DEP_1) | instskip(NEXT) | instid1(VALU_DEP_1)
	v_cndmask_b32_e64 v130, 0x7ff80000, v25, s0
	v_mul_f64 v[98:99], v[129:130], v[129:130]
	s_delay_alu instid0(VALU_DEP_1) | instskip(NEXT) | instid1(VALU_DEP_1)
	v_fma_f64 v[137:138], v[6:7], v[98:99], v[131:132]
	v_div_scale_f64 v[98:99], null, v[137:138], v[137:138], 1.0
	s_delay_alu instid0(VALU_DEP_1) | instskip(SKIP_2) | instid1(VALU_DEP_1)
	v_rcp_f64_e32 v[109:110], v[98:99]
	s_waitcnt_depctr 0xfff
	v_fma_f64 v[121:122], -v[98:99], v[109:110], 1.0
	v_fma_f64 v[109:110], v[109:110], v[121:122], v[109:110]
	s_delay_alu instid0(VALU_DEP_1) | instskip(NEXT) | instid1(VALU_DEP_1)
	v_fma_f64 v[121:122], -v[98:99], v[109:110], 1.0
	v_fma_f64 v[109:110], v[109:110], v[121:122], v[109:110]
	v_div_scale_f64 v[121:122], vcc_lo, 1.0, v[137:138], 1.0
	s_delay_alu instid0(VALU_DEP_1) | instskip(NEXT) | instid1(VALU_DEP_1)
	v_mul_f64 v[123:124], v[121:122], v[109:110]
	v_fma_f64 v[98:99], -v[98:99], v[123:124], v[121:122]
	s_delay_alu instid0(VALU_DEP_1) | instskip(NEXT) | instid1(VALU_DEP_1)
	v_div_fmas_f64 v[98:99], v[98:99], v[109:110], v[123:124]
	v_div_fixup_f64 v[139:140], v[98:99], v[137:138], 1.0
	s_delay_alu instid0(VALU_DEP_1) | instskip(NEXT) | instid1(VALU_DEP_1)
	v_mul_f64 v[90:91], v[139:140], -v[90:91]
	v_mul_f64 v[141:142], v[36:37], v[90:91]
	s_delay_alu instid0(VALU_DEP_1) | instskip(NEXT) | instid1(VALU_DEP_1)
	v_fma_f64 v[109:110], 0x3fafa000, v[141:142], v[88:89]
	v_cmp_ngt_f64_e64 s28, 0x41d00000, |v[109:110]|
	v_trig_preop_f64 v[98:99], |v[109:110]|, 0
	v_trig_preop_f64 v[90:91], |v[109:110]|, 1
	v_ldexp_f64 v[143:144], |v[109:110]|, 0xffffff80
	v_trig_preop_f64 v[88:89], |v[109:110]|, 2
	v_and_b32_e32 v149, 0x7fffffff, v110
	s_and_saveexec_b32 s1, s28
	s_delay_alu instid0(SALU_CYCLE_1)
	s_xor_b32 s38, exec_lo, s1
	s_cbranch_execz .LBB0_124
; %bb.123:                              ;   in Loop: Header=BB0_90 Depth=2
	v_cmp_le_f64_e64 vcc_lo, 0x7b000000, |v[109:110]|
	s_mov_b32 s2, s88
	s_mov_b32 s93, s91
	s_delay_alu instid0(VALU_DEP_4) | instskip(SKIP_1) | instid1(VALU_DEP_1)
	v_cndmask_b32_e32 v122, v149, v144, vcc_lo
	v_cndmask_b32_e32 v121, v109, v143, vcc_lo
	v_mul_f64 v[123:124], v[98:99], v[121:122]
	v_mul_f64 v[125:126], v[90:91], v[121:122]
	s_delay_alu instid0(VALU_DEP_2) | instskip(NEXT) | instid1(VALU_DEP_1)
	v_fma_f64 v[127:128], v[98:99], v[121:122], -v[123:124]
	v_add_f64 v[147:148], v[125:126], v[127:128]
	s_delay_alu instid0(VALU_DEP_1) | instskip(NEXT) | instid1(VALU_DEP_1)
	v_add_f64 v[150:151], v[147:148], -v[125:126]
	v_add_f64 v[127:128], v[127:128], -v[150:151]
	;; [unrolled: 1-line block ×3, first 2 shown]
	s_delay_alu instid0(VALU_DEP_1) | instskip(SKIP_1) | instid1(VALU_DEP_2)
	v_add_f64 v[150:151], v[125:126], -v[150:151]
	v_fma_f64 v[125:126], v[90:91], v[121:122], -v[125:126]
	v_add_f64 v[127:128], v[127:128], v[150:151]
	v_mul_f64 v[150:151], v[88:89], v[121:122]
	s_delay_alu instid0(VALU_DEP_1) | instskip(NEXT) | instid1(VALU_DEP_1)
	v_add_f64 v[152:153], v[150:151], v[125:126]
	v_add_f64 v[154:155], v[152:153], -v[150:151]
	s_delay_alu instid0(VALU_DEP_1) | instskip(SKIP_1) | instid1(VALU_DEP_1)
	v_add_f64 v[125:126], v[125:126], -v[154:155]
	v_add_f64 v[154:155], v[152:153], -v[154:155]
	;; [unrolled: 1-line block ×3, first 2 shown]
	s_delay_alu instid0(VALU_DEP_1) | instskip(SKIP_1) | instid1(VALU_DEP_1)
	v_add_f64 v[125:126], v[125:126], v[154:155]
	v_add_f64 v[154:155], v[152:153], v[127:128]
	v_add_f64 v[156:157], v[154:155], -v[152:153]
	s_delay_alu instid0(VALU_DEP_1) | instskip(SKIP_1) | instid1(VALU_DEP_1)
	v_add_f64 v[127:128], v[127:128], -v[156:157]
	v_add_f64 v[156:157], v[154:155], -v[156:157]
	;; [unrolled: 1-line block ×3, first 2 shown]
	v_add_f64 v[156:157], v[123:124], v[147:148]
	s_delay_alu instid0(VALU_DEP_2) | instskip(NEXT) | instid1(VALU_DEP_2)
	v_add_f64 v[127:128], v[127:128], v[152:153]
	v_add_f64 v[123:124], v[156:157], -v[123:124]
	v_ldexp_f64 v[156:157], v[156:157], -2
	s_delay_alu instid0(VALU_DEP_3) | instskip(NEXT) | instid1(VALU_DEP_3)
	v_add_f64 v[125:126], v[125:126], v[127:128]
	v_add_f64 v[123:124], v[147:148], -v[123:124]
	s_delay_alu instid0(VALU_DEP_3) | instskip(SKIP_1) | instid1(VALU_DEP_3)
	v_fract_f64_e32 v[158:159], v[156:157]
	v_cmp_neq_f64_e64 vcc_lo, 0x7ff00000, |v[156:157]|
	v_add_f64 v[127:128], v[123:124], v[154:155]
	s_delay_alu instid0(VALU_DEP_3) | instskip(SKIP_2) | instid1(VALU_DEP_4)
	v_cndmask_b32_e32 v147, 0, v158, vcc_lo
	v_fma_f64 v[121:122], v[88:89], v[121:122], -v[150:151]
	v_cndmask_b32_e32 v148, 0, v159, vcc_lo
	v_add_f64 v[123:124], v[127:128], -v[123:124]
	s_delay_alu instid0(VALU_DEP_3) | instskip(NEXT) | instid1(VALU_DEP_3)
	v_add_f64 v[121:122], v[121:122], v[125:126]
	v_ldexp_f64 v[125:126], v[147:148], 2
	s_delay_alu instid0(VALU_DEP_3) | instskip(NEXT) | instid1(VALU_DEP_2)
	v_add_f64 v[123:124], v[154:155], -v[123:124]
	v_add_f64 v[147:148], v[127:128], v[125:126]
	s_delay_alu instid0(VALU_DEP_2) | instskip(NEXT) | instid1(VALU_DEP_2)
	v_add_f64 v[121:122], v[123:124], v[121:122]
	v_cmp_gt_f64_e32 vcc_lo, 0, v[147:148]
	v_cndmask_b32_e64 v25, 0, 0x40100000, vcc_lo
	s_delay_alu instid0(VALU_DEP_1) | instskip(NEXT) | instid1(VALU_DEP_1)
	v_add_f64 v[125:126], v[125:126], v[24:25]
	v_add_f64 v[147:148], v[127:128], v[125:126]
	s_delay_alu instid0(VALU_DEP_1) | instskip(NEXT) | instid1(VALU_DEP_1)
	v_cvt_i32_f64_e32 v25, v[147:148]
	v_cvt_f64_i32_e32 v[147:148], v25
	s_delay_alu instid0(VALU_DEP_1) | instskip(NEXT) | instid1(VALU_DEP_1)
	v_add_f64 v[125:126], v[125:126], -v[147:148]
	v_add_f64 v[123:124], v[127:128], v[125:126]
	s_delay_alu instid0(VALU_DEP_1) | instskip(SKIP_1) | instid1(VALU_DEP_2)
	v_add_f64 v[125:126], v[123:124], -v[125:126]
	v_cmp_le_f64_e32 vcc_lo, 0.5, v[123:124]
	v_add_f64 v[125:126], v[127:128], -v[125:126]
	v_add_co_ci_u32_e64 v148, s1, 0, v25, vcc_lo
	v_cndmask_b32_e64 v25, 0, 0x3ff00000, vcc_lo
	s_delay_alu instid0(VALU_DEP_1) | instskip(NEXT) | instid1(VALU_DEP_4)
	v_add_f64 v[123:124], v[123:124], -v[24:25]
	v_add_f64 v[121:122], v[121:122], v[125:126]
	s_delay_alu instid0(VALU_DEP_1) | instskip(NEXT) | instid1(VALU_DEP_1)
	v_add_f64 v[125:126], v[123:124], v[121:122]
	v_add_f64 v[123:124], v[125:126], -v[123:124]
	s_delay_alu instid0(VALU_DEP_1) | instskip(SKIP_1) | instid1(VALU_DEP_1)
	v_add_f64 v[121:122], v[121:122], -v[123:124]
	v_mul_f64 v[123:124], v[125:126], s[2:3]
	v_fma_f64 v[127:128], v[125:126], s[2:3], -v[123:124]
	s_delay_alu instid0(VALU_DEP_1) | instskip(NEXT) | instid1(VALU_DEP_1)
	v_fma_f64 v[125:126], v[125:126], s[92:93], v[127:128]
	v_fma_f64 v[121:122], v[121:122], s[2:3], v[125:126]
	s_delay_alu instid0(VALU_DEP_1) | instskip(NEXT) | instid1(VALU_DEP_1)
	v_add_f64 v[125:126], v[123:124], v[121:122]
	v_add_f64 v[123:124], v[125:126], -v[123:124]
	s_delay_alu instid0(VALU_DEP_1)
	v_add_f64 v[127:128], v[121:122], -v[123:124]
	s_and_not1_saveexec_b32 s1, s38
	s_cbranch_execz .LBB0_126
	s_branch .LBB0_125
.LBB0_124:                              ;   in Loop: Header=BB0_90 Depth=2
	s_and_not1_saveexec_b32 s1, s38
	s_cbranch_execz .LBB0_126
.LBB0_125:                              ;   in Loop: Header=BB0_90 Depth=2
	v_mul_f64 v[121:122], |v[109:110]|, s[94:95]
	s_mov_b32 s90, s96
	s_delay_alu instid0(VALU_DEP_1) | instskip(NEXT) | instid1(VALU_DEP_1)
	v_rndne_f64_e32 v[121:122], v[121:122]
	v_fma_f64 v[123:124], v[121:122], s[88:89], |v[109:110]|
	v_mul_f64 v[125:126], v[121:122], s[96:97]
	s_delay_alu instid0(VALU_DEP_2) | instskip(NEXT) | instid1(VALU_DEP_2)
	v_fma_f64 v[147:148], v[121:122], s[96:97], v[123:124]
	v_add_f64 v[127:128], v[123:124], v[125:126]
	s_delay_alu instid0(VALU_DEP_1) | instskip(NEXT) | instid1(VALU_DEP_3)
	v_add_f64 v[123:124], v[123:124], -v[127:128]
	v_add_f64 v[127:128], v[127:128], -v[147:148]
	s_delay_alu instid0(VALU_DEP_2) | instskip(SKIP_1) | instid1(VALU_DEP_2)
	v_add_f64 v[123:124], v[123:124], v[125:126]
	v_fma_f64 v[125:126], v[121:122], s[90:91], v[125:126]
	v_add_f64 v[123:124], v[127:128], v[123:124]
	s_delay_alu instid0(VALU_DEP_1) | instskip(NEXT) | instid1(VALU_DEP_1)
	v_add_f64 v[123:124], v[123:124], -v[125:126]
	v_fma_f64 v[123:124], v[121:122], s[98:99], v[123:124]
	s_delay_alu instid0(VALU_DEP_1) | instskip(NEXT) | instid1(VALU_DEP_1)
	v_add_f64 v[125:126], v[147:148], v[123:124]
	v_add_f64 v[127:128], v[125:126], -v[147:148]
	v_cvt_i32_f64_e32 v148, v[121:122]
	s_delay_alu instid0(VALU_DEP_2)
	v_add_f64 v[127:128], v[123:124], -v[127:128]
.LBB0_126:                              ;   in Loop: Header=BB0_90 Depth=2
	s_or_b32 exec_lo, exec_lo, s1
                                        ; implicit-def: $vgpr147
                                        ; implicit-def: $vgpr121_vgpr122
                                        ; implicit-def: $vgpr123_vgpr124
	s_and_saveexec_b32 s1, s28
	s_delay_alu instid0(SALU_CYCLE_1)
	s_xor_b32 s28, exec_lo, s1
	s_cbranch_execz .LBB0_128
; %bb.127:                              ;   in Loop: Header=BB0_90 Depth=2
	v_cmp_le_f64_e64 vcc_lo, 0x7b000000, |v[109:110]|
	s_mov_b32 s2, s88
	s_mov_b32 s93, s91
	s_delay_alu instid0(VALU_DEP_4) | instskip(SKIP_1) | instid1(VALU_DEP_1)
	v_cndmask_b32_e32 v122, v149, v144, vcc_lo
	v_cndmask_b32_e32 v121, v109, v143, vcc_lo
	v_mul_f64 v[123:124], v[98:99], v[121:122]
	v_mul_f64 v[143:144], v[90:91], v[121:122]
	;; [unrolled: 1-line block ×3, first 2 shown]
	s_delay_alu instid0(VALU_DEP_3) | instskip(NEXT) | instid1(VALU_DEP_3)
	v_fma_f64 v[98:99], v[98:99], v[121:122], -v[123:124]
	v_fma_f64 v[90:91], v[90:91], v[121:122], -v[143:144]
	s_delay_alu instid0(VALU_DEP_3) | instskip(NEXT) | instid1(VALU_DEP_3)
	v_fma_f64 v[88:89], v[88:89], v[121:122], -v[149:150]
	v_add_f64 v[151:152], v[143:144], v[98:99]
	s_delay_alu instid0(VALU_DEP_1) | instskip(NEXT) | instid1(VALU_DEP_1)
	v_add_f64 v[121:122], v[151:152], -v[143:144]
	v_add_f64 v[98:99], v[98:99], -v[121:122]
	;; [unrolled: 1-line block ×3, first 2 shown]
	s_delay_alu instid0(VALU_DEP_1) | instskip(SKIP_1) | instid1(VALU_DEP_2)
	v_add_f64 v[121:122], v[143:144], -v[121:122]
	v_add_f64 v[143:144], v[123:124], v[151:152]
	v_add_f64 v[98:99], v[98:99], v[121:122]
	s_delay_alu instid0(VALU_DEP_2) | instskip(SKIP_1) | instid1(VALU_DEP_2)
	v_add_f64 v[123:124], v[143:144], -v[123:124]
	v_ldexp_f64 v[143:144], v[143:144], -2
	v_add_f64 v[123:124], v[151:152], -v[123:124]
	v_add_f64 v[151:152], v[149:150], v[90:91]
	s_delay_alu instid0(VALU_DEP_3) | instskip(SKIP_1) | instid1(VALU_DEP_3)
	v_fract_f64_e32 v[121:122], v[143:144]
	v_cmp_neq_f64_e64 vcc_lo, 0x7ff00000, |v[143:144]|
	v_add_f64 v[143:144], v[151:152], -v[149:150]
	s_delay_alu instid0(VALU_DEP_3) | instskip(NEXT) | instid1(VALU_DEP_1)
	v_dual_cndmask_b32 v122, 0, v122 :: v_dual_cndmask_b32 v121, 0, v121
	v_ldexp_f64 v[121:122], v[121:122], 2
	s_delay_alu instid0(VALU_DEP_3) | instskip(SKIP_1) | instid1(VALU_DEP_1)
	v_add_f64 v[90:91], v[90:91], -v[143:144]
	v_add_f64 v[143:144], v[151:152], -v[143:144]
	;; [unrolled: 1-line block ×3, first 2 shown]
	v_add_f64 v[149:150], v[151:152], v[98:99]
	s_delay_alu instid0(VALU_DEP_2) | instskip(NEXT) | instid1(VALU_DEP_2)
	v_add_f64 v[90:91], v[90:91], v[143:144]
	v_add_f64 v[143:144], v[149:150], -v[151:152]
	s_delay_alu instid0(VALU_DEP_1) | instskip(SKIP_1) | instid1(VALU_DEP_1)
	v_add_f64 v[98:99], v[98:99], -v[143:144]
	v_add_f64 v[143:144], v[149:150], -v[143:144]
	;; [unrolled: 1-line block ×3, first 2 shown]
	v_add_f64 v[151:152], v[123:124], v[149:150]
	s_delay_alu instid0(VALU_DEP_2) | instskip(NEXT) | instid1(VALU_DEP_2)
	v_add_f64 v[98:99], v[98:99], v[143:144]
	v_add_f64 v[153:154], v[151:152], v[121:122]
	v_add_f64 v[123:124], v[151:152], -v[123:124]
	s_delay_alu instid0(VALU_DEP_3) | instskip(NEXT) | instid1(VALU_DEP_3)
	v_add_f64 v[90:91], v[90:91], v[98:99]
	v_cmp_gt_f64_e32 vcc_lo, 0, v[153:154]
	s_delay_alu instid0(VALU_DEP_3) | instskip(NEXT) | instid1(VALU_DEP_3)
	v_add_f64 v[123:124], v[149:150], -v[123:124]
	v_add_f64 v[88:89], v[88:89], v[90:91]
	v_cndmask_b32_e64 v25, 0, 0x40100000, vcc_lo
	s_delay_alu instid0(VALU_DEP_1) | instskip(NEXT) | instid1(VALU_DEP_3)
	v_add_f64 v[121:122], v[121:122], v[24:25]
	v_add_f64 v[88:89], v[123:124], v[88:89]
	s_delay_alu instid0(VALU_DEP_2) | instskip(NEXT) | instid1(VALU_DEP_1)
	v_add_f64 v[143:144], v[151:152], v[121:122]
	v_cvt_i32_f64_e32 v25, v[143:144]
	s_delay_alu instid0(VALU_DEP_1) | instskip(NEXT) | instid1(VALU_DEP_1)
	v_cvt_f64_i32_e32 v[143:144], v25
	v_add_f64 v[121:122], v[121:122], -v[143:144]
	s_delay_alu instid0(VALU_DEP_1) | instskip(NEXT) | instid1(VALU_DEP_1)
	v_add_f64 v[98:99], v[151:152], v[121:122]
	v_add_f64 v[90:91], v[98:99], -v[121:122]
	v_cmp_le_f64_e32 vcc_lo, 0.5, v[98:99]
	s_delay_alu instid0(VALU_DEP_2) | instskip(SKIP_2) | instid1(VALU_DEP_3)
	v_add_f64 v[90:91], v[151:152], -v[90:91]
	v_add_co_ci_u32_e64 v147, s1, 0, v25, vcc_lo
	v_cndmask_b32_e64 v25, 0, 0x3ff00000, vcc_lo
	v_add_f64 v[88:89], v[88:89], v[90:91]
	s_delay_alu instid0(VALU_DEP_2) | instskip(NEXT) | instid1(VALU_DEP_1)
	v_add_f64 v[90:91], v[98:99], -v[24:25]
	v_add_f64 v[98:99], v[90:91], v[88:89]
	s_delay_alu instid0(VALU_DEP_1) | instskip(SKIP_1) | instid1(VALU_DEP_2)
	v_mul_f64 v[123:124], v[98:99], s[2:3]
	v_add_f64 v[90:91], v[98:99], -v[90:91]
	v_fma_f64 v[121:122], v[98:99], s[2:3], -v[123:124]
	s_delay_alu instid0(VALU_DEP_2) | instskip(NEXT) | instid1(VALU_DEP_2)
	v_add_f64 v[88:89], v[88:89], -v[90:91]
	v_fma_f64 v[90:91], v[98:99], s[92:93], v[121:122]
	s_delay_alu instid0(VALU_DEP_1) | instskip(NEXT) | instid1(VALU_DEP_1)
	v_fma_f64 v[88:89], v[88:89], s[2:3], v[90:91]
	v_add_f64 v[121:122], v[123:124], v[88:89]
	s_delay_alu instid0(VALU_DEP_1) | instskip(NEXT) | instid1(VALU_DEP_1)
	v_add_f64 v[90:91], v[121:122], -v[123:124]
	v_add_f64 v[123:124], v[88:89], -v[90:91]
	s_or_saveexec_b32 s1, s28
	v_add_f64 v[98:99], v[94:95], v[94:95]
	s_xor_b32 exec_lo, exec_lo, s1
	s_cbranch_execnz .LBB0_129
	s_branch .LBB0_130
.LBB0_128:                              ;   in Loop: Header=BB0_90 Depth=2
	s_or_saveexec_b32 s1, s28
	v_add_f64 v[98:99], v[94:95], v[94:95]
	s_xor_b32 exec_lo, exec_lo, s1
	s_cbranch_execz .LBB0_130
.LBB0_129:                              ;   in Loop: Header=BB0_90 Depth=2
	v_mul_f64 v[88:89], |v[109:110]|, s[94:95]
	s_mov_b32 s90, s96
	s_delay_alu instid0(VALU_DEP_1) | instskip(NEXT) | instid1(VALU_DEP_1)
	v_rndne_f64_e32 v[88:89], v[88:89]
	v_fma_f64 v[90:91], v[88:89], s[88:89], |v[109:110]|
	v_mul_f64 v[121:122], v[88:89], s[96:97]
	v_cvt_i32_f64_e32 v147, v[88:89]
	s_delay_alu instid0(VALU_DEP_3) | instskip(NEXT) | instid1(VALU_DEP_3)
	v_fma_f64 v[143:144], v[88:89], s[96:97], v[90:91]
	v_add_f64 v[123:124], v[90:91], v[121:122]
	s_delay_alu instid0(VALU_DEP_1) | instskip(NEXT) | instid1(VALU_DEP_3)
	v_add_f64 v[90:91], v[90:91], -v[123:124]
	v_add_f64 v[123:124], v[123:124], -v[143:144]
	s_delay_alu instid0(VALU_DEP_2) | instskip(SKIP_1) | instid1(VALU_DEP_2)
	v_add_f64 v[90:91], v[90:91], v[121:122]
	v_fma_f64 v[121:122], v[88:89], s[90:91], v[121:122]
	v_add_f64 v[90:91], v[123:124], v[90:91]
	s_delay_alu instid0(VALU_DEP_1) | instskip(NEXT) | instid1(VALU_DEP_1)
	v_add_f64 v[90:91], v[90:91], -v[121:122]
	v_fma_f64 v[90:91], v[88:89], s[98:99], v[90:91]
	s_delay_alu instid0(VALU_DEP_1) | instskip(NEXT) | instid1(VALU_DEP_1)
	v_add_f64 v[121:122], v[143:144], v[90:91]
	v_add_f64 v[123:124], v[121:122], -v[143:144]
	s_delay_alu instid0(VALU_DEP_1)
	v_add_f64 v[123:124], v[90:91], -v[123:124]
.LBB0_130:                              ;   in Loop: Header=BB0_90 Depth=2
	s_or_b32 exec_lo, exec_lo, s1
	v_add_f64 v[84:85], v[84:85], -v[115:116]
	v_mul_f64 v[161:162], s[8:9], v[115:116]
	v_mul_f64 v[90:91], v[36:37], -v[40:41]
	v_mul_f64 v[149:150], v[62:63], s[68:69]
	v_mul_f64 v[135:136], v[135:136], v[105:106]
	v_fma_f64 v[88:89], v[64:65], s[46:47], v[16:17]
	v_mul_f64 v[151:152], v[34:35], s[68:69]
	v_mul_f64 v[157:158], v[64:65], s[68:69]
	;; [unrolled: 1-line block ×3, first 2 shown]
	v_add_f64 v[105:106], v[105:106], -v[98:99]
	v_add_f64 v[96:97], v[6:7], v[96:97]
	v_add_f64 v[94:95], v[94:95], -1.0
	s_mov_b32 s48, s50
	s_mov_b32 s28, s16
	v_and_b32_e32 v25, 1, v146
	s_mov_b32 s74, s76
	s_mov_b32 s1, -1
	v_mul_f64 v[84:85], v[14:15], v[84:85]
	v_mul_f64 v[155:156], v[90:91], s[68:69]
	v_fma_f64 v[143:144], 0x40040000, v[86:87], v[88:89]
	v_mul_f64 v[88:89], v[42:43], v[36:37]
	v_mul_f64 v[105:106], v[14:15], v[105:106]
	;; [unrolled: 1-line block ×3, first 2 shown]
	v_div_scale_f64 v[163:164], null, v[92:93], v[92:93], v[84:85]
	v_fma_f64 v[143:144], v[74:75], s[50:51], v[143:144]
	v_mul_f64 v[153:154], v[88:89], s[68:69]
	s_delay_alu instid0(VALU_DEP_3) | instskip(SKIP_2) | instid1(VALU_DEP_1)
	v_rcp_f64_e32 v[165:166], v[163:164]
	s_waitcnt_depctr 0xfff
	v_fma_f64 v[167:168], -v[163:164], v[165:166], 1.0
	v_fma_f64 v[165:166], v[165:166], v[167:168], v[165:166]
	s_delay_alu instid0(VALU_DEP_1) | instskip(NEXT) | instid1(VALU_DEP_1)
	v_fma_f64 v[167:168], -v[163:164], v[165:166], 1.0
	v_fma_f64 v[165:166], v[165:166], v[167:168], v[165:166]
	v_div_scale_f64 v[167:168], vcc_lo, v[84:85], v[92:93], v[84:85]
	s_delay_alu instid0(VALU_DEP_1) | instskip(NEXT) | instid1(VALU_DEP_1)
	v_mul_f64 v[169:170], v[167:168], v[165:166]
	v_fma_f64 v[163:164], -v[163:164], v[169:170], v[167:168]
	s_delay_alu instid0(VALU_DEP_1) | instskip(NEXT) | instid1(VALU_DEP_1)
	v_div_fmas_f64 v[163:164], v[163:164], v[165:166], v[169:170]
	v_div_fixup_f64 v[84:85], v[163:164], v[92:93], v[84:85]
	v_fma_f64 v[92:93], -v[14:15], v[161:162], v[119:120]
	s_delay_alu instid0(VALU_DEP_2) | instskip(NEXT) | instid1(VALU_DEP_2)
	v_fma_f64 v[84:85], s[8:9], v[115:116], v[84:85]
	v_fma_f64 v[92:93], v[92:93], v[117:118], 1.0
	v_fma_f64 v[115:116], v[70:71], s[70:71], -v[149:150]
	s_delay_alu instid0(VALU_DEP_3) | instskip(NEXT) | instid1(VALU_DEP_3)
	v_mul_f64 v[84:85], v[117:118], -v[84:85]
	v_mul_f64 v[92:93], v[36:37], -v[92:93]
	v_fma_f64 v[117:118], v[66:67], s[70:71], -v[151:152]
	v_fma_f64 v[151:152], v[74:75], s[70:71], -v[157:158]
	s_delay_alu instid0(VALU_DEP_4) | instskip(NEXT) | instid1(VALU_DEP_4)
	v_mul_f64 v[84:85], v[36:37], v[84:85]
	v_fma_f64 v[149:150], v[92:93], s[70:71], -v[155:156]
	v_div_scale_f64 v[155:156], null, v[135:136], v[135:136], 1.0
	s_delay_alu instid0(VALU_DEP_3) | instskip(SKIP_1) | instid1(VALU_DEP_3)
	v_fma_f64 v[119:120], v[84:85], s[70:71], -v[153:154]
	v_fma_f64 v[153:154], v[68:69], s[70:71], -v[159:160]
	v_rcp_f64_e32 v[157:158], v[155:156]
	s_waitcnt_depctr 0xfff
	v_fma_f64 v[159:160], -v[155:156], v[157:158], 1.0
	s_delay_alu instid0(VALU_DEP_1) | instskip(NEXT) | instid1(VALU_DEP_1)
	v_fma_f64 v[157:158], v[157:158], v[159:160], v[157:158]
	v_fma_f64 v[159:160], -v[155:156], v[157:158], 1.0
	s_delay_alu instid0(VALU_DEP_1) | instskip(SKIP_1) | instid1(VALU_DEP_1)
	v_fma_f64 v[157:158], v[157:158], v[159:160], v[157:158]
	v_div_scale_f64 v[159:160], vcc_lo, 1.0, v[135:136], 1.0
	v_mul_f64 v[161:162], v[159:160], v[157:158]
	s_delay_alu instid0(VALU_DEP_1) | instskip(NEXT) | instid1(VALU_DEP_1)
	v_fma_f64 v[155:156], -v[155:156], v[161:162], v[159:160]
	v_div_fmas_f64 v[155:156], v[155:156], v[157:158], v[161:162]
	v_div_scale_f64 v[157:158], null, v[133:134], v[133:134], v[105:106]
	s_delay_alu instid0(VALU_DEP_2) | instskip(NEXT) | instid1(VALU_DEP_2)
	v_div_fixup_f64 v[135:136], v[155:156], v[135:136], 1.0
	v_rcp_f64_e32 v[159:160], v[157:158]
	v_mul_f64 v[155:156], s[8:9], v[98:99]
	s_waitcnt_depctr 0xfff
	v_fma_f64 v[161:162], -v[157:158], v[159:160], 1.0
	s_delay_alu instid0(VALU_DEP_1) | instskip(NEXT) | instid1(VALU_DEP_1)
	v_fma_f64 v[159:160], v[159:160], v[161:162], v[159:160]
	v_fma_f64 v[161:162], -v[157:158], v[159:160], 1.0
	s_delay_alu instid0(VALU_DEP_1) | instskip(SKIP_1) | instid1(VALU_DEP_1)
	v_fma_f64 v[159:160], v[159:160], v[161:162], v[159:160]
	v_div_scale_f64 v[161:162], vcc_lo, v[105:106], v[133:134], v[105:106]
	v_mul_f64 v[163:164], v[161:162], v[159:160]
	s_delay_alu instid0(VALU_DEP_1) | instskip(NEXT) | instid1(VALU_DEP_1)
	v_fma_f64 v[157:158], -v[157:158], v[163:164], v[161:162]
	v_div_fmas_f64 v[157:158], v[157:158], v[159:160], v[163:164]
	v_cmp_eq_u32_e32 vcc_lo, 0, v25
	s_delay_alu instid0(VALU_DEP_2) | instskip(SKIP_1) | instid1(VALU_DEP_2)
	v_div_fixup_f64 v[105:106], v[157:158], v[133:134], v[105:106]
	v_add_f64 v[133:134], v[113:114], v[113:114]
	v_fma_f64 v[105:106], s[8:9], v[98:99], v[105:106]
	s_delay_alu instid0(VALU_DEP_2) | instskip(SKIP_2) | instid1(VALU_DEP_4)
	v_mul_f64 v[113:114], v[113:114], v[133:134]
	v_fma_f64 v[98:99], -v[14:15], v[155:156], v[96:97]
	v_fma_f64 v[96:97], -v[22:23], v[94:95], v[96:97]
	v_mul_f64 v[105:106], v[135:136], -v[105:106]
	s_delay_alu instid0(VALU_DEP_4) | instskip(NEXT) | instid1(VALU_DEP_4)
	v_mul_f64 v[94:95], v[94:95], v[113:114]
	v_fma_f64 v[98:99], v[98:99], v[135:136], 1.0
	s_delay_alu instid0(VALU_DEP_4) | instskip(SKIP_4) | instid1(VALU_DEP_1)
	v_add_f64 v[96:97], v[96:97], -v[28:29]
	v_fma_f64 v[113:114], v[78:79], s[72:73], v[115:116]
	v_fma_f64 v[115:116], v[72:73], s[72:73], v[117:118]
	;; [unrolled: 1-line block ×3, first 2 shown]
	v_mul_f64 v[94:95], v[94:95], v[107:108]
	v_fma_f64 v[133:134], v[96:97], v[135:136], -v[94:95]
	v_mul_f64 v[96:97], v[36:37], -v[98:99]
	v_mul_f64 v[135:136], v[101:102], v[101:102]
	v_mul_f64 v[94:95], v[36:37], v[105:106]
	s_delay_alu instid0(VALU_DEP_4) | instskip(NEXT) | instid1(VALU_DEP_4)
	v_mul_f64 v[98:99], v[36:37], -v[133:134]
	v_fma_f64 v[107:108], v[96:97], s[72:73], v[149:150]
	s_delay_alu instid0(VALU_DEP_4) | instskip(NEXT) | instid1(VALU_DEP_4)
	v_fma_f64 v[149:150], v[135:136], s[20:21], s[18:19]
	v_fma_f64 v[105:106], v[94:95], s[72:73], v[119:120]
	;; [unrolled: 1-line block ×3, first 2 shown]
	v_mul_f64 v[153:154], v[135:136], v[135:136]
	v_fma_f64 v[133:134], v[98:99], s[48:49], v[143:144]
	v_fma_f64 v[119:120], v[98:99], s[72:73], v[151:152]
	;; [unrolled: 1-line block ×3, first 2 shown]
	v_mul_f64 v[143:144], v[101:102], -v[135:136]
	v_mul_f64 v[151:152], v[103:104], 0.5
	v_fma_f64 v[155:156], v[135:136], v[155:156], s[10:11]
	s_delay_alu instid0(VALU_DEP_4) | instskip(NEXT) | instid1(VALU_DEP_2)
	v_fma_f64 v[149:150], v[135:136], v[149:150], s[24:25]
	v_fma_f64 v[155:156], v[135:136], v[155:156], s[12:13]
	s_delay_alu instid0(VALU_DEP_2) | instskip(NEXT) | instid1(VALU_DEP_2)
	v_fma_f64 v[149:150], v[135:136], v[149:150], s[26:27]
	v_fma_f64 v[155:156], v[135:136], v[155:156], s[14:15]
	s_delay_alu instid0(VALU_DEP_2) | instskip(NEXT) | instid1(VALU_DEP_1)
	v_fma_f64 v[149:150], v[143:144], v[149:150], v[151:152]
	v_fma_f64 v[149:150], v[135:136], v[149:150], -v[103:104]
	s_delay_alu instid0(VALU_DEP_1) | instskip(SKIP_2) | instid1(VALU_DEP_3)
	v_fma_f64 v[143:144], v[143:144], s[28:29], v[149:150]
	v_mul_f64 v[149:150], v[135:136], 0.5
	v_fma_f64 v[135:136], v[135:136], v[155:156], s[16:17]
	v_add_f64 v[143:144], v[101:102], -v[143:144]
	s_delay_alu instid0(VALU_DEP_3) | instskip(NEXT) | instid1(VALU_DEP_1)
	v_add_f64 v[151:152], -v[149:150], 1.0
	v_add_f64 v[155:156], -v[151:152], 1.0
	s_delay_alu instid0(VALU_DEP_1) | instskip(NEXT) | instid1(VALU_DEP_1)
	v_add_f64 v[149:150], v[155:156], -v[149:150]
	v_fma_f64 v[101:102], v[101:102], -v[103:104], v[149:150]
	s_delay_alu instid0(VALU_DEP_1) | instskip(SKIP_1) | instid1(VALU_DEP_2)
	v_fma_f64 v[101:102], v[153:154], v[135:136], v[101:102]
	v_add_f64 v[135:136], v[111:112], v[111:112]
	v_add_f64 v[101:102], v[151:152], v[101:102]
	s_delay_alu instid0(VALU_DEP_1) | instskip(NEXT) | instid1(VALU_DEP_2)
	v_cndmask_b32_e32 v25, v101, v143, vcc_lo
	v_cndmask_b32_e32 v101, v102, v144, vcc_lo
	v_fma_f64 v[143:144], v[111:112], -2.0, v[131:132]
	v_lshlrev_b32_e32 v102, 30, v146
	v_add_f64 v[131:132], v[6:7], v[131:132]
	s_delay_alu instid0(VALU_DEP_2) | instskip(NEXT) | instid1(VALU_DEP_1)
	v_xor_b32_e32 v100, v102, v100
	v_and_b32_e32 v100, 0x80000000, v100
	s_delay_alu instid0(VALU_DEP_1) | instskip(SKIP_2) | instid1(VALU_DEP_3)
	v_xor_b32_e32 v101, v101, v100
	v_cndmask_b32_e64 v100, 0, v25, s0
	v_and_b32_e32 v25, 1, v148
	v_cndmask_b32_e64 v101, 0x7ff80000, v101, s0
	s_delay_alu instid0(VALU_DEP_1) | instskip(SKIP_3) | instid1(VALU_DEP_3)
	v_mul_f64 v[102:103], v[100:101], v[100:101]
	v_cmp_gt_f64_e64 s0, s[100:101], v[100:101]
	v_add_f64 v[143:144], v[6:7], v[143:144]
	v_mul_f64 v[131:132], v[135:136], v[131:132]
	v_cndmask_b32_e64 v103, v103, 0x3c9cd2b2, s0
	v_cndmask_b32_e64 v102, v102, 0x97d889bc, s0
	;; [unrolled: 1-line block ×4, first 2 shown]
	v_cmp_eq_u32_e64 s0, 0, v25
	s_delay_alu instid0(VALU_DEP_2) | instskip(SKIP_4) | instid1(VALU_DEP_4)
	v_mul_f64 v[100:101], -v[100:101], v[129:130]
	v_mul_f64 v[149:150], v[143:144], v[137:138]
	v_fma_f64 v[137:138], v[111:112], -2.0, v[137:138]
	v_mul_f64 v[143:144], v[143:144], -v[133:134]
	v_add_f64 v[111:112], v[111:112], -1.0
	v_div_scale_f64 v[151:152], null, v[149:150], v[149:150], 1.0
	s_delay_alu instid0(VALU_DEP_4) | instskip(NEXT) | instid1(VALU_DEP_4)
	v_mul_f64 v[137:138], v[14:15], v[137:138]
	v_mul_f64 v[143:144], v[143:144], v[139:140]
	s_delay_alu instid0(VALU_DEP_3) | instskip(SKIP_2) | instid1(VALU_DEP_1)
	v_rcp_f64_e32 v[153:154], v[151:152]
	s_waitcnt_depctr 0xfff
	v_fma_f64 v[155:156], -v[151:152], v[153:154], 1.0
	v_fma_f64 v[153:154], v[153:154], v[155:156], v[153:154]
	s_delay_alu instid0(VALU_DEP_1) | instskip(NEXT) | instid1(VALU_DEP_1)
	v_fma_f64 v[155:156], -v[151:152], v[153:154], 1.0
	v_fma_f64 v[153:154], v[153:154], v[155:156], v[153:154]
	v_div_scale_f64 v[155:156], vcc_lo, 1.0, v[149:150], 1.0
	s_delay_alu instid0(VALU_DEP_1) | instskip(NEXT) | instid1(VALU_DEP_1)
	v_mul_f64 v[157:158], v[155:156], v[153:154]
	v_fma_f64 v[151:152], -v[151:152], v[157:158], v[155:156]
	s_delay_alu instid0(VALU_DEP_1) | instskip(SKIP_1) | instid1(VALU_DEP_2)
	v_div_fmas_f64 v[151:152], v[151:152], v[153:154], v[157:158]
	v_div_scale_f64 v[153:154], null, v[102:103], v[102:103], v[137:138]
	v_div_fixup_f64 v[149:150], v[151:152], v[149:150], 1.0
	s_delay_alu instid0(VALU_DEP_2) | instskip(SKIP_3) | instid1(VALU_DEP_1)
	v_rcp_f64_e32 v[155:156], v[153:154]
	v_mul_f64 v[151:152], s[8:9], v[135:136]
	s_waitcnt_depctr 0xfff
	v_fma_f64 v[157:158], -v[153:154], v[155:156], 1.0
	v_fma_f64 v[155:156], v[155:156], v[157:158], v[155:156]
	s_delay_alu instid0(VALU_DEP_1) | instskip(NEXT) | instid1(VALU_DEP_1)
	v_fma_f64 v[157:158], -v[153:154], v[155:156], 1.0
	v_fma_f64 v[155:156], v[155:156], v[157:158], v[155:156]
	v_div_scale_f64 v[157:158], vcc_lo, v[137:138], v[102:103], v[137:138]
	s_delay_alu instid0(VALU_DEP_1) | instskip(NEXT) | instid1(VALU_DEP_1)
	v_mul_f64 v[159:160], v[157:158], v[155:156]
	v_fma_f64 v[153:154], -v[153:154], v[159:160], v[157:158]
	s_delay_alu instid0(VALU_DEP_1) | instskip(NEXT) | instid1(VALU_DEP_1)
	v_div_fmas_f64 v[153:154], v[153:154], v[155:156], v[159:160]
	v_div_fixup_f64 v[137:138], v[153:154], v[102:103], v[137:138]
	v_mul_f64 v[102:103], v[102:103], v[102:103]
	s_delay_alu instid0(VALU_DEP_2)
	v_fma_f64 v[137:138], s[8:9], v[135:136], v[137:138]
	v_fma_f64 v[135:136], -v[14:15], v[151:152], v[131:132]
	v_add_f64 v[151:152], v[133:134], v[133:134]
	v_fma_f64 v[131:132], -v[22:23], v[111:112], v[131:132]
	v_div_scale_f64 v[129:130], null, v[102:103], v[102:103], v[20:21]
	v_mul_f64 v[137:138], v[149:150], v[137:138]
	v_fma_f64 v[135:136], v[135:136], v[149:150], 1.0
	v_mul_f64 v[133:134], v[133:134], v[151:152]
	v_add_f64 v[131:132], v[131:132], -v[28:29]
	s_delay_alu instid0(VALU_DEP_2) | instskip(NEXT) | instid1(VALU_DEP_1)
	v_mul_f64 v[111:112], v[111:112], v[133:134]
	v_mul_f64 v[111:112], v[111:112], v[139:140]
	s_delay_alu instid0(VALU_DEP_1) | instskip(SKIP_3) | instid1(VALU_DEP_1)
	v_fma_f64 v[111:112], v[131:132], v[149:150], -v[111:112]
	v_rcp_f64_e32 v[131:132], v[129:130]
	s_waitcnt_depctr 0xfff
	v_fma_f64 v[133:134], -v[129:130], v[131:132], 1.0
	v_fma_f64 v[131:132], v[131:132], v[133:134], v[131:132]
	s_delay_alu instid0(VALU_DEP_1) | instskip(NEXT) | instid1(VALU_DEP_1)
	v_fma_f64 v[133:134], -v[129:130], v[131:132], 1.0
	v_fma_f64 v[131:132], v[131:132], v[133:134], v[131:132]
	v_div_scale_f64 v[133:134], vcc_lo, v[20:21], v[102:103], v[20:21]
	s_delay_alu instid0(VALU_DEP_1) | instskip(NEXT) | instid1(VALU_DEP_1)
	v_mul_f64 v[149:150], v[133:134], v[131:132]
	v_fma_f64 v[129:130], -v[129:130], v[149:150], v[133:134]
	v_mul_f64 v[133:134], v[36:37], -v[111:112]
	s_delay_alu instid0(VALU_DEP_2) | instskip(SKIP_1) | instid1(VALU_DEP_3)
	v_div_fmas_f64 v[129:130], v[129:130], v[131:132], v[149:150]
	v_mul_f64 v[131:132], v[36:37], v[143:144]
	v_fma_f64 v[111:112], v[133:134], s[76:77], v[119:120]
	v_cmp_class_f64_e64 vcc_lo, v[109:110], 0x1f8
	v_mul_f64 v[119:120], v[127:128], 0.5
	v_div_fixup_f64 v[102:103], v[129:130], v[102:103], v[20:21]
	s_delay_alu instid0(VALU_DEP_1) | instskip(NEXT) | instid1(VALU_DEP_1)
	v_add_f64 v[102:103], v[102:103], -v[6:7]
	v_mul_f64 v[100:101], v[102:103], v[100:101]
	v_fma_f64 v[102:103], v[131:132], s[76:77], v[113:114]
	v_mul_f64 v[113:114], v[36:37], v[137:138]
	s_delay_alu instid0(VALU_DEP_3) | instskip(SKIP_1) | instid1(VALU_DEP_3)
	v_mul_f64 v[129:130], v[100:101], v[139:140]
	v_fma_f64 v[100:101], v[141:142], s[76:77], v[115:116]
	v_fma_f64 v[104:105], v[113:114], s[74:75], v[105:106]
	v_mul_f64 v[113:114], v[36:37], v[135:136]
	s_delay_alu instid0(VALU_DEP_4) | instskip(NEXT) | instid1(VALU_DEP_2)
	v_mul_f64 v[115:116], v[36:37], v[129:130]
	v_fma_f64 v[106:107], v[113:114], s[74:75], v[107:108]
	s_delay_alu instid0(VALU_DEP_2) | instskip(SKIP_1) | instid1(VALU_DEP_1)
	v_fma_f64 v[113:114], v[115:116], s[76:77], v[117:118]
	v_fma_f64 v[117:118], v[60:61], s[52:53], v[18:19]
	v_fma_f64 v[82:83], 0x3fd5e000, v[82:83], v[117:118]
	s_delay_alu instid0(VALU_DEP_1) | instskip(NEXT) | instid1(VALU_DEP_1)
	v_fma_f64 v[82:83], v[68:69], s[60:61], v[82:83]
	v_fma_f64 v[82:83], v[76:77], s[62:63], v[82:83]
	s_delay_alu instid0(VALU_DEP_1) | instskip(SKIP_1) | instid1(VALU_DEP_1)
	v_fma_f64 v[115:116], 0x3fafa000, v[115:116], v[82:83]
	v_fma_f64 v[82:83], v[64:65], s[52:53], v[16:17]
	;; [unrolled: 1-line block ×4, first 2 shown]
	s_delay_alu instid0(VALU_DEP_2) | instskip(NEXT) | instid1(VALU_DEP_2)
	v_fma_f64 v[82:83], v[74:75], s[60:61], v[82:83]
	v_fma_f64 v[80:81], 0x3fd5e000, v[80:81], v[86:87]
	v_mul_f64 v[86:87], v[125:126], v[125:126]
	s_delay_alu instid0(VALU_DEP_3) | instskip(NEXT) | instid1(VALU_DEP_3)
	v_fma_f64 v[82:83], v[98:99], s[62:63], v[82:83]
	v_fma_f64 v[80:81], v[70:71], s[60:61], v[80:81]
	s_delay_alu instid0(VALU_DEP_3)
	v_fma_f64 v[117:118], v[86:87], s[20:21], s[18:19]
	v_mul_f64 v[108:109], v[125:126], -v[86:87]
	v_mul_f64 v[129:130], v[86:87], v[86:87]
	v_fma_f64 v[82:83], 0x3fafa000, v[133:134], v[82:83]
	v_fma_f64 v[80:81], v[78:79], s[62:63], v[80:81]
	;; [unrolled: 1-line block ×3, first 2 shown]
	s_delay_alu instid0(VALU_DEP_2) | instskip(NEXT) | instid1(VALU_DEP_2)
	v_fma_f64 v[80:81], 0x3fafa000, v[131:132], v[80:81]
	v_fma_f64 v[117:118], v[86:87], v[117:118], s[24:25]
	;; [unrolled: 1-line block ×3, first 2 shown]
	s_delay_alu instid0(VALU_DEP_2) | instskip(NEXT) | instid1(VALU_DEP_2)
	v_fma_f64 v[117:118], v[86:87], v[117:118], s[26:27]
	v_fma_f64 v[131:132], v[86:87], v[131:132], s[10:11]
	s_delay_alu instid0(VALU_DEP_2) | instskip(NEXT) | instid1(VALU_DEP_2)
	v_fma_f64 v[117:118], v[108:109], v[117:118], v[119:120]
	v_fma_f64 v[131:132], v[86:87], v[131:132], s[12:13]
	s_delay_alu instid0(VALU_DEP_2) | instskip(NEXT) | instid1(VALU_DEP_2)
	v_fma_f64 v[117:118], v[86:87], v[117:118], -v[127:128]
	v_fma_f64 v[131:132], v[86:87], v[131:132], s[14:15]
	s_delay_alu instid0(VALU_DEP_2) | instskip(SKIP_1) | instid1(VALU_DEP_3)
	v_fma_f64 v[108:109], v[108:109], s[28:29], v[117:118]
	v_mul_f64 v[117:118], v[86:87], 0.5
	v_fma_f64 v[86:87], v[86:87], v[131:132], s[16:17]
	s_delay_alu instid0(VALU_DEP_3) | instskip(NEXT) | instid1(VALU_DEP_3)
	v_add_f64 v[108:109], v[125:126], -v[108:109]
	v_add_f64 v[119:120], -v[117:118], 1.0
	s_delay_alu instid0(VALU_DEP_1) | instskip(NEXT) | instid1(VALU_DEP_1)
	v_add_f64 v[131:132], -v[119:120], 1.0
	v_add_f64 v[117:118], v[131:132], -v[117:118]
	s_delay_alu instid0(VALU_DEP_1) | instskip(NEXT) | instid1(VALU_DEP_1)
	v_fma_f64 v[117:118], v[125:126], -v[127:128], v[117:118]
	v_fma_f64 v[86:87], v[129:130], v[86:87], v[117:118]
	s_delay_alu instid0(VALU_DEP_1) | instskip(NEXT) | instid1(VALU_DEP_1)
	v_add_f64 v[86:87], v[119:120], v[86:87]
	v_cndmask_b32_e64 v25, v86, v108, s0
	s_delay_alu instid0(VALU_DEP_2) | instskip(SKIP_2) | instid1(VALU_DEP_1)
	v_cndmask_b32_e64 v86, v87, v109, s0
	v_mul_f64 v[108:109], v[121:122], v[121:122]
	v_lshlrev_b32_e32 v87, 30, v148
	v_xor_b32_e32 v87, v87, v110
	s_delay_alu instid0(VALU_DEP_1) | instskip(NEXT) | instid1(VALU_DEP_1)
	v_and_b32_e32 v87, 0x80000000, v87
	v_xor_b32_e32 v87, v86, v87
	v_cndmask_b32_e32 v86, 0, v25, vcc_lo
	s_delay_alu instid0(VALU_DEP_2) | instskip(SKIP_2) | instid1(VALU_DEP_2)
	v_cndmask_b32_e32 v87, 0x7ff80000, v87, vcc_lo
	v_mul_f64 v[117:118], v[108:109], 0.5
	v_fma_f64 v[127:128], v[108:109], s[6:7], s[4:5]
	v_add_f64 v[119:120], -v[117:118], 1.0
	s_delay_alu instid0(VALU_DEP_2) | instskip(NEXT) | instid1(VALU_DEP_2)
	v_fma_f64 v[127:128], v[108:109], v[127:128], s[10:11]
	v_add_f64 v[125:126], -v[119:120], 1.0
	s_delay_alu instid0(VALU_DEP_2) | instskip(NEXT) | instid1(VALU_DEP_2)
	v_fma_f64 v[127:128], v[108:109], v[127:128], s[12:13]
	v_add_f64 v[117:118], v[125:126], -v[117:118]
	s_delay_alu instid0(VALU_DEP_2) | instskip(SKIP_1) | instid1(VALU_DEP_3)
	v_fma_f64 v[127:128], v[108:109], v[127:128], s[14:15]
	v_mul_f64 v[125:126], v[108:109], v[108:109]
	v_fma_f64 v[117:118], v[121:122], -v[123:124], v[117:118]
	s_delay_alu instid0(VALU_DEP_3) | instskip(NEXT) | instid1(VALU_DEP_1)
	v_fma_f64 v[127:128], v[108:109], v[127:128], s[16:17]
	v_fma_f64 v[117:118], v[125:126], v[127:128], v[117:118]
	v_mul_f64 v[125:126], v[121:122], -v[108:109]
	v_mul_f64 v[127:128], v[123:124], 0.5
	s_delay_alu instid0(VALU_DEP_3) | instskip(SKIP_1) | instid1(VALU_DEP_1)
	v_add_f64 v[117:118], v[119:120], v[117:118]
	v_fma_f64 v[119:120], v[108:109], s[20:21], s[18:19]
	v_fma_f64 v[119:120], v[108:109], v[119:120], s[22:23]
	s_delay_alu instid0(VALU_DEP_1) | instskip(NEXT) | instid1(VALU_DEP_1)
	v_fma_f64 v[119:120], v[108:109], v[119:120], s[24:25]
	v_fma_f64 v[119:120], v[108:109], v[119:120], s[26:27]
	s_delay_alu instid0(VALU_DEP_1) | instskip(NEXT) | instid1(VALU_DEP_1)
	v_fma_f64 v[119:120], v[125:126], v[119:120], v[127:128]
	v_fma_f64 v[108:109], v[108:109], v[119:120], -v[123:124]
	s_delay_alu instid0(VALU_DEP_1) | instskip(SKIP_1) | instid1(VALU_DEP_2)
	v_fma_f64 v[108:109], v[125:126], s[28:29], v[108:109]
	v_add_f64 v[125:126], v[80:81], v[80:81]
	v_add_f64 v[108:109], v[121:122], -v[108:109]
	s_delay_alu instid0(VALU_DEP_1) | instskip(SKIP_1) | instid1(VALU_DEP_1)
	v_xor_b32_e32 v25, 0x80000000, v109
	v_and_b32_e32 v109, 1, v147
	v_cmp_eq_u32_e64 s0, 0, v109
	v_lshlrev_b32_e32 v109, 30, v147
	s_delay_alu instid0(VALU_DEP_2) | instskip(SKIP_1) | instid1(VALU_DEP_3)
	v_cndmask_b32_e64 v108, v108, v117, s0
	v_cndmask_b32_e64 v25, v25, v118, s0
	v_and_b32_e32 v109, 0x80000000, v109
	v_cmp_gt_f64_e64 s0, s[100:101], v[86:87]
	s_delay_alu instid0(VALU_DEP_4) | instskip(NEXT) | instid1(VALU_DEP_3)
	v_cndmask_b32_e32 v119, 0, v108, vcc_lo
	v_xor_b32_e32 v25, v25, v109
	v_mul_f64 v[108:109], v[86:87], v[86:87]
	s_delay_alu instid0(VALU_DEP_2) | instskip(NEXT) | instid1(VALU_DEP_2)
	v_cndmask_b32_e32 v120, 0x7ff80000, v25, vcc_lo
	v_cndmask_b32_e64 v122, v109, 0x3c9cd2b2, s0
	s_delay_alu instid0(VALU_DEP_3) | instskip(NEXT) | instid1(VALU_DEP_3)
	v_cndmask_b32_e64 v121, v108, 0x97d889bc, s0
	v_mul_f64 v[108:109], v[119:120], v[119:120]
	s_delay_alu instid0(VALU_DEP_1) | instskip(NEXT) | instid1(VALU_DEP_1)
	v_mul_f64 v[108:109], v[6:7], v[108:109]
	v_fma_f64 v[123:124], v[80:81], v[80:81], v[108:109]
	v_fma_f64 v[108:109], v[80:81], v[80:81], -v[125:126]
	s_delay_alu instid0(VALU_DEP_1) | instskip(NEXT) | instid1(VALU_DEP_1)
	v_add_f64 v[108:109], v[6:7], v[108:109]
	v_mul_f64 v[117:118], v[108:109], v[123:124]
	v_mul_f64 v[108:109], v[108:109], -v[82:83]
	s_delay_alu instid0(VALU_DEP_2) | instskip(NEXT) | instid1(VALU_DEP_1)
	v_div_scale_f64 v[127:128], null, v[117:118], v[117:118], 1.0
	v_rcp_f64_e32 v[129:130], v[127:128]
	s_waitcnt_depctr 0xfff
	v_fma_f64 v[131:132], -v[127:128], v[129:130], 1.0
	s_delay_alu instid0(VALU_DEP_1) | instskip(NEXT) | instid1(VALU_DEP_1)
	v_fma_f64 v[129:130], v[129:130], v[131:132], v[129:130]
	v_fma_f64 v[131:132], -v[127:128], v[129:130], 1.0
	s_delay_alu instid0(VALU_DEP_1) | instskip(SKIP_1) | instid1(VALU_DEP_1)
	v_fma_f64 v[129:130], v[129:130], v[131:132], v[129:130]
	v_div_scale_f64 v[131:132], vcc_lo, 1.0, v[117:118], 1.0
	v_mul_f64 v[133:134], v[131:132], v[129:130]
	s_delay_alu instid0(VALU_DEP_1) | instskip(NEXT) | instid1(VALU_DEP_1)
	v_fma_f64 v[127:128], -v[127:128], v[133:134], v[131:132]
	v_div_fmas_f64 v[127:128], v[127:128], v[129:130], v[133:134]
	s_delay_alu instid0(VALU_DEP_1) | instskip(SKIP_1) | instid1(VALU_DEP_1)
	v_div_fixup_f64 v[127:128], v[127:128], v[117:118], 1.0
	v_div_scale_f64 v[117:118], null, v[123:124], v[123:124], 1.0
	v_rcp_f64_e32 v[129:130], v[117:118]
	s_waitcnt_depctr 0xfff
	v_fma_f64 v[131:132], -v[117:118], v[129:130], 1.0
	s_delay_alu instid0(VALU_DEP_1) | instskip(NEXT) | instid1(VALU_DEP_1)
	v_fma_f64 v[129:130], v[129:130], v[131:132], v[129:130]
	v_fma_f64 v[131:132], -v[117:118], v[129:130], 1.0
	s_delay_alu instid0(VALU_DEP_1) | instskip(SKIP_1) | instid1(VALU_DEP_1)
	v_fma_f64 v[129:130], v[129:130], v[131:132], v[129:130]
	v_div_scale_f64 v[131:132], vcc_lo, 1.0, v[123:124], 1.0
	v_mul_f64 v[133:134], v[131:132], v[129:130]
	s_delay_alu instid0(VALU_DEP_1) | instskip(NEXT) | instid1(VALU_DEP_1)
	v_fma_f64 v[117:118], -v[117:118], v[133:134], v[131:132]
	v_div_fmas_f64 v[117:118], v[117:118], v[129:130], v[133:134]
	s_delay_alu instid0(VALU_DEP_1) | instskip(SKIP_1) | instid1(VALU_DEP_2)
	v_div_fixup_f64 v[129:130], v[117:118], v[123:124], 1.0
	v_fma_f64 v[123:124], v[80:81], -2.0, v[123:124]
	v_mul_f64 v[117:118], v[108:109], v[129:130]
	s_delay_alu instid0(VALU_DEP_2) | instskip(SKIP_2) | instid1(VALU_DEP_3)
	v_mul_f64 v[123:124], v[14:15], v[123:124]
	v_mul_f64 v[108:109], v[129:130], -v[115:116]
	v_mul_f64 v[115:116], s[8:9], v[125:126]
	v_div_scale_f64 v[131:132], null, v[121:122], v[121:122], v[123:124]
	s_delay_alu instid0(VALU_DEP_3) | instskip(NEXT) | instid1(VALU_DEP_2)
	v_mul_f64 v[108:109], v[36:37], v[108:109]
	v_rcp_f64_e32 v[133:134], v[131:132]
	s_waitcnt_depctr 0xfff
	v_fma_f64 v[135:136], -v[131:132], v[133:134], 1.0
	s_delay_alu instid0(VALU_DEP_1) | instskip(NEXT) | instid1(VALU_DEP_1)
	v_fma_f64 v[133:134], v[133:134], v[135:136], v[133:134]
	v_fma_f64 v[135:136], -v[131:132], v[133:134], 1.0
	s_delay_alu instid0(VALU_DEP_1) | instskip(SKIP_1) | instid1(VALU_DEP_1)
	v_fma_f64 v[133:134], v[133:134], v[135:136], v[133:134]
	v_div_scale_f64 v[135:136], vcc_lo, v[123:124], v[121:122], v[123:124]
	v_mul_f64 v[137:138], v[135:136], v[133:134]
	s_delay_alu instid0(VALU_DEP_1) | instskip(NEXT) | instid1(VALU_DEP_1)
	v_fma_f64 v[131:132], -v[131:132], v[137:138], v[135:136]
	v_div_fmas_f64 v[131:132], v[131:132], v[133:134], v[137:138]
	s_delay_alu instid0(VALU_DEP_1) | instskip(SKIP_2) | instid1(VALU_DEP_3)
	v_div_fixup_f64 v[123:124], v[131:132], v[121:122], v[123:124]
	v_fma_f64 v[131:132], v[80:81], v[80:81], v[6:7]
	v_add_f64 v[80:81], v[80:81], -1.0
	v_fma_f64 v[123:124], s[8:9], v[125:126], v[123:124]
	s_delay_alu instid0(VALU_DEP_3) | instskip(NEXT) | instid1(VALU_DEP_2)
	v_mul_f64 v[125:126], v[125:126], v[131:132]
	v_mul_f64 v[123:124], v[127:128], -v[123:124]
	s_delay_alu instid0(VALU_DEP_2) | instskip(NEXT) | instid1(VALU_DEP_1)
	v_fma_f64 v[115:116], -v[14:15], v[115:116], v[125:126]
	v_fma_f64 v[131:132], v[115:116], v[127:128], 1.0
	v_fma_f64 v[115:116], -v[22:23], v[80:81], v[125:126]
	v_add_f64 v[125:126], v[82:83], v[82:83]
	s_delay_alu instid0(VALU_DEP_2) | instskip(NEXT) | instid1(VALU_DEP_2)
	v_add_f64 v[115:116], v[115:116], -v[28:29]
	v_mul_f64 v[82:83], v[82:83], v[125:126]
	s_delay_alu instid0(VALU_DEP_1) | instskip(SKIP_4) | instid1(VALU_DEP_2)
	v_mul_f64 v[80:81], v[80:81], v[82:83]
	v_cndmask_b32_e64 v83, v87, 0x3e45798e, s0
	v_cndmask_b32_e64 v82, v86, 0xe2308c3a, s0
	v_mul_f64 v[86:87], v[121:122], v[121:122]
	s_mov_b32 s0, exec_lo
	v_mul_f64 v[82:83], -v[82:83], v[119:120]
	v_mul_f64 v[80:81], v[80:81], v[129:130]
	s_delay_alu instid0(VALU_DEP_1) | instskip(NEXT) | instid1(VALU_DEP_4)
	v_fma_f64 v[80:81], v[115:116], v[127:128], -v[80:81]
	v_div_scale_f64 v[115:116], null, v[86:87], v[86:87], v[20:21]
	s_delay_alu instid0(VALU_DEP_1) | instskip(SKIP_2) | instid1(VALU_DEP_1)
	v_rcp_f64_e32 v[119:120], v[115:116]
	s_waitcnt_depctr 0xfff
	v_fma_f64 v[121:122], -v[115:116], v[119:120], 1.0
	v_fma_f64 v[119:120], v[119:120], v[121:122], v[119:120]
	s_delay_alu instid0(VALU_DEP_1) | instskip(NEXT) | instid1(VALU_DEP_1)
	v_fma_f64 v[121:122], -v[115:116], v[119:120], 1.0
	v_fma_f64 v[119:120], v[119:120], v[121:122], v[119:120]
	v_div_scale_f64 v[121:122], vcc_lo, v[20:21], v[86:87], v[20:21]
	s_delay_alu instid0(VALU_DEP_1) | instskip(NEXT) | instid1(VALU_DEP_1)
	v_mul_f64 v[125:126], v[121:122], v[119:120]
	v_fma_f64 v[115:116], -v[115:116], v[125:126], v[121:122]
	v_fma_f64 v[121:122], v[108:109], s[78:79], v[100:101]
	v_mul_f64 v[100:101], v[36:37], -v[80:81]
	s_delay_alu instid0(VALU_DEP_3) | instskip(NEXT) | instid1(VALU_DEP_1)
	v_div_fmas_f64 v[115:116], v[115:116], v[119:120], v[125:126]
	v_div_fixup_f64 v[86:87], v[115:116], v[86:87], v[20:21]
	v_mul_f64 v[115:116], v[36:37], v[117:118]
	s_delay_alu instid0(VALU_DEP_2) | instskip(NEXT) | instid1(VALU_DEP_2)
	v_add_f64 v[86:87], v[86:87], -v[6:7]
	v_fma_f64 v[117:118], v[115:116], s[78:79], v[102:103]
	s_delay_alu instid0(VALU_DEP_2) | instskip(SKIP_1) | instid1(VALU_DEP_2)
	v_mul_f64 v[82:83], v[86:87], v[82:83]
	v_mul_f64 v[86:87], v[36:37], -v[131:132]
	v_mul_f64 v[119:120], v[82:83], v[129:130]
	v_mul_f64 v[82:83], v[36:37], v[123:124]
	s_delay_alu instid0(VALU_DEP_3) | instskip(NEXT) | instid1(VALU_DEP_3)
	v_fma_f64 v[106:107], v[86:87], s[78:79], v[106:107]
	v_mul_f64 v[102:103], v[36:37], v[119:120]
	s_delay_alu instid0(VALU_DEP_3) | instskip(SKIP_2) | instid1(VALU_DEP_4)
	v_fma_f64 v[123:124], v[82:83], s[78:79], v[104:105]
	v_fma_f64 v[104:105], v[100:101], s[78:79], v[111:112]
	v_div_scale_f64 v[110:111], null, v[48:49], v[48:49], v[117:118]
	v_fma_f64 v[80:81], v[102:103], s[78:79], v[113:114]
	s_delay_alu instid0(VALU_DEP_2) | instskip(SKIP_2) | instid1(VALU_DEP_1)
	v_rcp_f64_e32 v[112:113], v[110:111]
	s_waitcnt_depctr 0xfff
	v_fma_f64 v[119:120], -v[110:111], v[112:113], 1.0
	v_fma_f64 v[112:113], v[112:113], v[119:120], v[112:113]
	s_delay_alu instid0(VALU_DEP_1) | instskip(NEXT) | instid1(VALU_DEP_1)
	v_fma_f64 v[119:120], -v[110:111], v[112:113], 1.0
	v_fma_f64 v[112:113], v[112:113], v[119:120], v[112:113]
	v_div_scale_f64 v[119:120], vcc_lo, v[117:118], v[48:49], v[117:118]
	s_delay_alu instid0(VALU_DEP_1) | instskip(NEXT) | instid1(VALU_DEP_1)
	v_mul_f64 v[125:126], v[119:120], v[112:113]
	v_fma_f64 v[110:111], -v[110:111], v[125:126], v[119:120]
	s_delay_alu instid0(VALU_DEP_1) | instskip(SKIP_1) | instid1(VALU_DEP_2)
	v_div_fmas_f64 v[110:111], v[110:111], v[112:113], v[125:126]
	v_div_scale_f64 v[112:113], null, v[50:51], v[50:51], v[121:122]
	v_div_fixup_f64 v[110:111], v[110:111], v[48:49], v[117:118]
	s_delay_alu instid0(VALU_DEP_2) | instskip(NEXT) | instid1(VALU_DEP_1)
	v_rcp_f64_e32 v[117:118], v[112:113]
	v_max_f64 v[110:111], |v[110:111]|, 0
	s_waitcnt_depctr 0xfff
	v_fma_f64 v[119:120], -v[112:113], v[117:118], 1.0
	s_delay_alu instid0(VALU_DEP_1) | instskip(NEXT) | instid1(VALU_DEP_1)
	v_fma_f64 v[117:118], v[117:118], v[119:120], v[117:118]
	v_fma_f64 v[119:120], -v[112:113], v[117:118], 1.0
	s_delay_alu instid0(VALU_DEP_1) | instskip(SKIP_1) | instid1(VALU_DEP_1)
	v_fma_f64 v[117:118], v[117:118], v[119:120], v[117:118]
	v_div_scale_f64 v[119:120], vcc_lo, v[121:122], v[50:51], v[121:122]
	v_mul_f64 v[125:126], v[119:120], v[117:118]
	s_delay_alu instid0(VALU_DEP_1) | instskip(NEXT) | instid1(VALU_DEP_1)
	v_fma_f64 v[112:113], -v[112:113], v[125:126], v[119:120]
	v_div_fmas_f64 v[112:113], v[112:113], v[117:118], v[125:126]
	s_delay_alu instid0(VALU_DEP_1) | instskip(NEXT) | instid1(VALU_DEP_1)
	v_div_fixup_f64 v[112:113], v[112:113], v[50:51], v[121:122]
	v_cmp_gt_f64_e64 vcc_lo, |v[112:113]|, v[110:111]
	v_dual_cndmask_b32 v110, v110, v112 :: v_dual_and_b32 v25, 0x7fffffff, v113
	v_div_scale_f64 v[112:113], null, v[52:53], v[52:53], v[123:124]
	s_delay_alu instid0(VALU_DEP_2) | instskip(NEXT) | instid1(VALU_DEP_2)
	v_cndmask_b32_e32 v111, v111, v25, vcc_lo
	v_rcp_f64_e32 v[117:118], v[112:113]
	s_waitcnt_depctr 0xfff
	v_fma_f64 v[119:120], -v[112:113], v[117:118], 1.0
	s_delay_alu instid0(VALU_DEP_1) | instskip(NEXT) | instid1(VALU_DEP_1)
	v_fma_f64 v[117:118], v[117:118], v[119:120], v[117:118]
	v_fma_f64 v[119:120], -v[112:113], v[117:118], 1.0
	s_delay_alu instid0(VALU_DEP_1) | instskip(SKIP_1) | instid1(VALU_DEP_1)
	v_fma_f64 v[117:118], v[117:118], v[119:120], v[117:118]
	v_div_scale_f64 v[119:120], vcc_lo, v[123:124], v[52:53], v[123:124]
	v_mul_f64 v[121:122], v[119:120], v[117:118]
	s_delay_alu instid0(VALU_DEP_1) | instskip(NEXT) | instid1(VALU_DEP_1)
	v_fma_f64 v[112:113], -v[112:113], v[121:122], v[119:120]
	v_div_fmas_f64 v[112:113], v[112:113], v[117:118], v[121:122]
	s_delay_alu instid0(VALU_DEP_1) | instskip(NEXT) | instid1(VALU_DEP_1)
	v_div_fixup_f64 v[112:113], v[112:113], v[52:53], v[123:124]
	v_cmp_gt_f64_e64 vcc_lo, |v[112:113]|, v[110:111]
	v_dual_cndmask_b32 v110, v110, v112 :: v_dual_and_b32 v25, 0x7fffffff, v113
	v_div_scale_f64 v[112:113], null, v[54:55], v[54:55], v[106:107]
	s_delay_alu instid0(VALU_DEP_2) | instskip(NEXT) | instid1(VALU_DEP_2)
	v_cndmask_b32_e32 v111, v111, v25, vcc_lo
	v_rcp_f64_e32 v[117:118], v[112:113]
	s_waitcnt_depctr 0xfff
	v_fma_f64 v[119:120], -v[112:113], v[117:118], 1.0
	s_delay_alu instid0(VALU_DEP_1) | instskip(NEXT) | instid1(VALU_DEP_1)
	v_fma_f64 v[117:118], v[117:118], v[119:120], v[117:118]
	v_fma_f64 v[119:120], -v[112:113], v[117:118], 1.0
	s_delay_alu instid0(VALU_DEP_1) | instskip(SKIP_1) | instid1(VALU_DEP_1)
	v_fma_f64 v[117:118], v[117:118], v[119:120], v[117:118]
	v_div_scale_f64 v[119:120], vcc_lo, v[106:107], v[54:55], v[106:107]
	v_mul_f64 v[121:122], v[119:120], v[117:118]
	s_delay_alu instid0(VALU_DEP_1) | instskip(NEXT) | instid1(VALU_DEP_1)
	v_fma_f64 v[112:113], -v[112:113], v[121:122], v[119:120]
	v_div_fmas_f64 v[112:113], v[112:113], v[117:118], v[121:122]
	s_delay_alu instid0(VALU_DEP_1) | instskip(NEXT) | instid1(VALU_DEP_1)
	v_div_fixup_f64 v[106:107], v[112:113], v[54:55], v[106:107]
	v_cmp_gt_f64_e64 vcc_lo, |v[106:107]|, v[110:111]
	v_and_b32_e32 v25, 0x7fffffff, v107
	s_delay_alu instid0(VALU_DEP_1) | instskip(SKIP_1) | instid1(VALU_DEP_1)
	v_dual_cndmask_b32 v107, v111, v25 :: v_dual_cndmask_b32 v106, v110, v106
	v_div_scale_f64 v[110:111], null, v[56:57], v[56:57], v[104:105]
	v_rcp_f64_e32 v[112:113], v[110:111]
	s_waitcnt_depctr 0xfff
	v_fma_f64 v[117:118], -v[110:111], v[112:113], 1.0
	s_delay_alu instid0(VALU_DEP_1) | instskip(NEXT) | instid1(VALU_DEP_1)
	v_fma_f64 v[112:113], v[112:113], v[117:118], v[112:113]
	v_fma_f64 v[117:118], -v[110:111], v[112:113], 1.0
	s_delay_alu instid0(VALU_DEP_1) | instskip(SKIP_1) | instid1(VALU_DEP_1)
	v_fma_f64 v[112:113], v[112:113], v[117:118], v[112:113]
	v_div_scale_f64 v[117:118], vcc_lo, v[104:105], v[56:57], v[104:105]
	v_mul_f64 v[119:120], v[117:118], v[112:113]
	s_delay_alu instid0(VALU_DEP_1) | instskip(NEXT) | instid1(VALU_DEP_1)
	v_fma_f64 v[110:111], -v[110:111], v[119:120], v[117:118]
	v_div_fmas_f64 v[110:111], v[110:111], v[112:113], v[119:120]
	s_delay_alu instid0(VALU_DEP_1) | instskip(NEXT) | instid1(VALU_DEP_1)
	v_div_fixup_f64 v[104:105], v[110:111], v[56:57], v[104:105]
	v_cmp_gt_f64_e64 vcc_lo, |v[104:105]|, v[106:107]
	v_and_b32_e32 v25, 0x7fffffff, v105
	s_delay_alu instid0(VALU_DEP_1) | instskip(SKIP_1) | instid1(VALU_DEP_1)
	v_dual_cndmask_b32 v105, v107, v25 :: v_dual_cndmask_b32 v104, v106, v104
	v_div_scale_f64 v[106:107], null, v[58:59], v[58:59], v[80:81]
	v_rcp_f64_e32 v[110:111], v[106:107]
	s_waitcnt_depctr 0xfff
	v_fma_f64 v[112:113], -v[106:107], v[110:111], 1.0
	s_delay_alu instid0(VALU_DEP_1) | instskip(NEXT) | instid1(VALU_DEP_1)
	v_fma_f64 v[110:111], v[110:111], v[112:113], v[110:111]
	v_fma_f64 v[112:113], -v[106:107], v[110:111], 1.0
	s_delay_alu instid0(VALU_DEP_1) | instskip(SKIP_1) | instid1(VALU_DEP_1)
	v_fma_f64 v[110:111], v[110:111], v[112:113], v[110:111]
	v_div_scale_f64 v[112:113], vcc_lo, v[80:81], v[58:59], v[80:81]
	v_mul_f64 v[117:118], v[112:113], v[110:111]
	s_delay_alu instid0(VALU_DEP_1) | instskip(NEXT) | instid1(VALU_DEP_1)
	v_fma_f64 v[106:107], -v[106:107], v[117:118], v[112:113]
	v_div_fmas_f64 v[106:107], v[106:107], v[110:111], v[117:118]
	s_delay_alu instid0(VALU_DEP_1) | instskip(NEXT) | instid1(VALU_DEP_1)
	v_div_fixup_f64 v[80:81], v[106:107], v[58:59], v[80:81]
	v_cmp_gt_f64_e64 vcc_lo, |v[80:81]|, v[104:105]
	v_dual_cndmask_b32 v80, v104, v80 :: v_dual_and_b32 v25, 0x7fffffff, v81
	s_delay_alu instid0(VALU_DEP_1) | instskip(NEXT) | instid1(VALU_DEP_1)
	v_cndmask_b32_e32 v81, v105, v25, vcc_lo
	v_mul_f64 v[104:105], v[80:81], s[84:85]
                                        ; implicit-def: $vgpr80_vgpr81
	s_delay_alu instid0(VALU_DEP_1)
	v_cmpx_nge_f64_e32 1.0, v[104:105]
	s_cbranch_execz .LBB0_89
; %bb.131:                              ;   in Loop: Header=BB0_90 Depth=2
	v_cmp_gt_f64_e32 vcc_lo, 0x10000000, v[104:105]
	s_mov_b32 s86, s42
	s_mov_b32 s56, s36
	v_mul_f64 v[80:81], v[36:37], s[86:87]
	s_mov_b32 s1, exec_lo
	v_cndmask_b32_e64 v25, 0, 1, vcc_lo
	s_delay_alu instid0(VALU_DEP_1) | instskip(NEXT) | instid1(VALU_DEP_1)
	v_lshlrev_b32_e32 v25, 8, v25
	v_ldexp_f64 v[106:107], v[104:105], v25
	v_cndmask_b32_e64 v25, 0, 0xffffff80, vcc_lo
	s_delay_alu instid0(VALU_DEP_2) | instskip(SKIP_4) | instid1(VALU_DEP_1)
	v_rsq_f64_e32 v[110:111], v[106:107]
	v_cmp_class_f64_e64 vcc_lo, v[106:107], 0x260
	s_waitcnt_depctr 0xfff
	v_mul_f64 v[112:113], v[106:107], v[110:111]
	v_mul_f64 v[110:111], v[110:111], 0.5
	v_fma_f64 v[117:118], -v[110:111], v[112:113], 0.5
	s_delay_alu instid0(VALU_DEP_1) | instskip(SKIP_1) | instid1(VALU_DEP_2)
	v_fma_f64 v[112:113], v[112:113], v[117:118], v[112:113]
	v_fma_f64 v[110:111], v[110:111], v[117:118], v[110:111]
	v_fma_f64 v[119:120], -v[112:113], v[112:113], v[106:107]
	s_delay_alu instid0(VALU_DEP_1) | instskip(NEXT) | instid1(VALU_DEP_1)
	v_fma_f64 v[112:113], v[119:120], v[110:111], v[112:113]
	v_fma_f64 v[117:118], -v[112:113], v[112:113], v[106:107]
	s_delay_alu instid0(VALU_DEP_1) | instskip(NEXT) | instid1(VALU_DEP_1)
	v_fma_f64 v[110:111], v[117:118], v[110:111], v[112:113]
	v_ldexp_f64 v[110:111], v[110:111], v25
	s_delay_alu instid0(VALU_DEP_1) | instskip(NEXT) | instid1(VALU_DEP_1)
	v_dual_cndmask_b32 v106, v110, v106 :: v_dual_cndmask_b32 v107, v111, v107
	v_cmp_gt_f64_e32 vcc_lo, 0x10000000, v[106:107]
	v_cndmask_b32_e64 v25, 0, 1, vcc_lo
	s_delay_alu instid0(VALU_DEP_1) | instskip(NEXT) | instid1(VALU_DEP_1)
	v_lshlrev_b32_e32 v25, 8, v25
	v_ldexp_f64 v[106:107], v[106:107], v25
	v_cndmask_b32_e64 v25, 0, 0xffffff80, vcc_lo
	s_delay_alu instid0(VALU_DEP_2) | instskip(SKIP_4) | instid1(VALU_DEP_1)
	v_rsq_f64_e32 v[110:111], v[106:107]
	v_cmp_class_f64_e64 vcc_lo, v[106:107], 0x260
	s_waitcnt_depctr 0xfff
	v_mul_f64 v[112:113], v[106:107], v[110:111]
	v_mul_f64 v[110:111], v[110:111], 0.5
	v_fma_f64 v[117:118], -v[110:111], v[112:113], 0.5
	s_delay_alu instid0(VALU_DEP_1) | instskip(SKIP_1) | instid1(VALU_DEP_2)
	v_fma_f64 v[112:113], v[112:113], v[117:118], v[112:113]
	v_fma_f64 v[110:111], v[110:111], v[117:118], v[110:111]
	v_fma_f64 v[119:120], -v[112:113], v[112:113], v[106:107]
	s_delay_alu instid0(VALU_DEP_1) | instskip(NEXT) | instid1(VALU_DEP_1)
	v_fma_f64 v[112:113], v[119:120], v[110:111], v[112:113]
	v_fma_f64 v[117:118], -v[112:113], v[112:113], v[106:107]
	s_delay_alu instid0(VALU_DEP_1) | instskip(NEXT) | instid1(VALU_DEP_1)
	v_fma_f64 v[110:111], v[117:118], v[110:111], v[112:113]
	v_ldexp_f64 v[110:111], v[110:111], v25
	s_delay_alu instid0(VALU_DEP_1) | instskip(NEXT) | instid1(VALU_DEP_1)
	v_dual_cndmask_b32 v106, v110, v106 :: v_dual_cndmask_b32 v107, v111, v107
	v_div_scale_f64 v[110:111], null, v[106:107], v[106:107], v[80:81]
	s_delay_alu instid0(VALU_DEP_1) | instskip(SKIP_2) | instid1(VALU_DEP_1)
	v_rcp_f64_e32 v[112:113], v[110:111]
	s_waitcnt_depctr 0xfff
	v_fma_f64 v[117:118], -v[110:111], v[112:113], 1.0
	v_fma_f64 v[112:113], v[112:113], v[117:118], v[112:113]
	s_delay_alu instid0(VALU_DEP_1) | instskip(NEXT) | instid1(VALU_DEP_1)
	v_fma_f64 v[117:118], -v[110:111], v[112:113], 1.0
	v_fma_f64 v[112:113], v[112:113], v[117:118], v[112:113]
	v_div_scale_f64 v[117:118], vcc_lo, v[80:81], v[106:107], v[80:81]
	s_delay_alu instid0(VALU_DEP_1) | instskip(NEXT) | instid1(VALU_DEP_1)
	v_mul_f64 v[119:120], v[117:118], v[112:113]
	v_fma_f64 v[110:111], -v[110:111], v[119:120], v[117:118]
	s_delay_alu instid0(VALU_DEP_1) | instskip(NEXT) | instid1(VALU_DEP_1)
	v_div_fmas_f64 v[110:111], v[110:111], v[112:113], v[119:120]
	v_div_fixup_f64 v[106:107], v[110:111], v[106:107], v[80:81]
	v_mul_f64 v[80:81], v[36:37], s[56:57]
	s_delay_alu instid0(VALU_DEP_1)
	v_cmpx_le_f64_e32 0, v[80:81]
	s_xor_b32 s1, exec_lo, s1
	s_cbranch_execz .LBB0_135
; %bb.132:                              ;   in Loop: Header=BB0_90 Depth=2
	s_mov_b32 s2, exec_lo
	s_delay_alu instid0(VALU_DEP_3)
	v_cmpx_gt_f64_e32 v[106:107], v[80:81]
	s_xor_b32 s2, exec_lo, s2
; %bb.133:                              ;   in Loop: Header=BB0_90 Depth=2
	v_dual_mov_b32 v80, v106 :: v_dual_mov_b32 v81, v107
; %bb.134:                              ;   in Loop: Header=BB0_90 Depth=2
	s_or_b32 exec_lo, exec_lo, s2
                                        ; implicit-def: $vgpr106_vgpr107
.LBB0_135:                              ;   in Loop: Header=BB0_90 Depth=2
	s_and_not1_saveexec_b32 s1, s1
	s_cbranch_execz .LBB0_88
; %bb.136:                              ;   in Loop: Header=BB0_90 Depth=2
	s_mov_b32 s2, exec_lo
	s_delay_alu instid0(VALU_DEP_3)
	v_cmpx_lt_f64_e32 v[106:107], v[80:81]
	s_xor_b32 s2, exec_lo, s2
	s_cbranch_execz .LBB0_87
; %bb.137:                              ;   in Loop: Header=BB0_90 Depth=2
	v_dual_mov_b32 v80, v106 :: v_dual_mov_b32 v81, v107
	s_branch .LBB0_87
.LBB0_138:                              ;   in Loop: Header=BB0_78 Depth=1
	s_or_b32 exec_lo, exec_lo, s34
	s_delay_alu instid0(SALU_CYCLE_1)
	s_mov_b32 s0, exec_lo
                                        ; implicit-def: $vgpr80_vgpr81
	v_cmpx_nlt_f64_e32 s[54:55], v[104:105]
	s_xor_b32 s0, exec_lo, s0
; %bb.139:                              ;   in Loop: Header=BB0_78 Depth=1
	v_mul_f64 v[80:81], 0x40140000, v[36:37]
; %bb.140:                              ;   in Loop: Header=BB0_78 Depth=1
	s_and_not1_saveexec_b32 s2, s0
	s_cbranch_execz .LBB0_142
; %bb.141:                              ;   in Loop: Header=BB0_78 Depth=1
	v_frexp_mant_f64_e32 v[38:39], v[104:105]
	v_readlane_b32 s34, v171, 0
	v_readlane_b32 s35, v171, 1
	s_mov_b32 s34, s16
	s_mov_b32 s0, 0x968915a9
	;; [unrolled: 1-line block ×8, first 2 shown]
	s_delay_alu instid0(SALU_CYCLE_1) | instskip(NEXT) | instid1(VALU_DEP_4)
	v_mul_f64 v[36:37], v[36:37], s[86:87]
	v_cmp_gt_f64_e32 vcc_lo, s[34:35], v[38:39]
	v_cndmask_b32_e64 v25, 0x3ff00000, 2.0, vcc_lo
	s_delay_alu instid0(VALU_DEP_1) | instskip(SKIP_1) | instid1(VALU_DEP_2)
	v_mul_f64 v[38:39], v[38:39], v[24:25]
	v_frexp_exp_i32_f64_e32 v25, v[104:105]
	v_add_f64 v[40:41], v[38:39], 1.0
	v_add_f64 v[46:47], v[38:39], -1.0
	s_delay_alu instid0(VALU_DEP_3) | instskip(SKIP_1) | instid1(VALU_DEP_4)
	v_subrev_co_ci_u32_e32 v25, vcc_lo, 0, v25, vcc_lo
	v_cmp_eq_f64_e32 vcc_lo, 1.0, v[104:105]
	v_rcp_f64_e32 v[42:43], v[40:41]
	s_waitcnt_depctr 0xfff
	v_fma_f64 v[44:45], -v[40:41], v[42:43], 1.0
	s_delay_alu instid0(VALU_DEP_1) | instskip(NEXT) | instid1(VALU_DEP_1)
	v_fma_f64 v[42:43], v[44:45], v[42:43], v[42:43]
	v_fma_f64 v[44:45], -v[40:41], v[42:43], 1.0
	s_delay_alu instid0(VALU_DEP_1) | instskip(SKIP_1) | instid1(VALU_DEP_2)
	v_fma_f64 v[42:43], v[44:45], v[42:43], v[42:43]
	v_add_f64 v[44:45], v[40:41], -1.0
	v_mul_f64 v[48:49], v[46:47], v[42:43]
	s_delay_alu instid0(VALU_DEP_2) | instskip(NEXT) | instid1(VALU_DEP_2)
	v_add_f64 v[38:39], v[38:39], -v[44:45]
	v_mul_f64 v[44:45], v[40:41], v[48:49]
	s_delay_alu instid0(VALU_DEP_1) | instskip(NEXT) | instid1(VALU_DEP_1)
	v_fma_f64 v[40:41], v[48:49], v[40:41], -v[44:45]
	v_fma_f64 v[38:39], v[48:49], v[38:39], v[40:41]
	s_delay_alu instid0(VALU_DEP_1) | instskip(NEXT) | instid1(VALU_DEP_1)
	v_add_f64 v[40:41], v[44:45], v[38:39]
	v_add_f64 v[44:45], v[40:41], -v[44:45]
	s_delay_alu instid0(VALU_DEP_1) | instskip(SKIP_1) | instid1(VALU_DEP_1)
	v_add_f64 v[38:39], v[44:45], -v[38:39]
	v_add_f64 v[44:45], v[46:47], -v[40:41]
	;; [unrolled: 1-line block ×3, first 2 shown]
	s_delay_alu instid0(VALU_DEP_1) | instskip(NEXT) | instid1(VALU_DEP_1)
	v_add_f64 v[40:41], v[46:47], -v[40:41]
	v_add_f64 v[38:39], v[38:39], v[40:41]
	s_delay_alu instid0(VALU_DEP_1) | instskip(NEXT) | instid1(VALU_DEP_1)
	v_add_f64 v[38:39], v[44:45], v[38:39]
	v_mul_f64 v[38:39], v[42:43], v[38:39]
	s_delay_alu instid0(VALU_DEP_1) | instskip(NEXT) | instid1(VALU_DEP_1)
	v_add_f64 v[40:41], v[48:49], v[38:39]
	v_add_f64 v[42:43], v[40:41], -v[48:49]
	v_mul_f64 v[44:45], v[40:41], v[40:41]
	s_delay_alu instid0(VALU_DEP_2) | instskip(NEXT) | instid1(VALU_DEP_2)
	v_add_f64 v[38:39], v[38:39], -v[42:43]
	v_fma_f64 v[42:43], v[40:41], v[40:41], -v[44:45]
	s_delay_alu instid0(VALU_DEP_2) | instskip(NEXT) | instid1(VALU_DEP_1)
	v_add_f64 v[46:47], v[38:39], v[38:39]
	v_fma_f64 v[42:43], v[40:41], v[46:47], v[42:43]
	s_delay_alu instid0(VALU_DEP_1) | instskip(NEXT) | instid1(VALU_DEP_1)
	v_add_f64 v[46:47], v[44:45], v[42:43]
	v_fma_f64 v[48:49], v[46:47], s[82:83], s[0:1]
	s_mov_b32 s0, 0x3abe935a
	s_mov_b32 s1, 0x3fbe25e4
	v_add_f64 v[44:45], v[46:47], -v[44:45]
	s_mov_b32 s82, 0x3b39803f
	s_mov_b32 s83, 0x3c7abc9e
	;; [unrolled: 1-line block ×3, first 2 shown]
	s_delay_alu instid0(VALU_DEP_2) | instskip(SKIP_2) | instid1(VALU_DEP_2)
	v_fma_f64 v[48:49], v[46:47], v[48:49], s[0:1]
	s_mov_b32 s0, 0x47e6c9c2
	s_mov_b32 s1, 0x3fc110ef
	v_add_f64 v[42:43], v[42:43], -v[44:45]
	s_delay_alu instid0(VALU_DEP_2)
	v_fma_f64 v[48:49], v[46:47], v[48:49], s[0:1]
	s_mov_b32 s0, 0xcfa74449
	s_mov_b32 s1, 0x3fc3b13b
	s_delay_alu instid0(VALU_DEP_1) | instid1(SALU_CYCLE_1)
	v_fma_f64 v[48:49], v[46:47], v[48:49], s[0:1]
	s_mov_b32 s0, 0x71bf3c30
	s_mov_b32 s1, 0x3fc745d1
	s_delay_alu instid0(VALU_DEP_1) | instid1(SALU_CYCLE_1)
	;; [unrolled: 4-line block ×5, first 2 shown]
	v_fma_f64 v[48:49], v[46:47], v[48:49], s[0:1]
	v_readlane_b32 s0, v171, 2
	v_readlane_b32 s1, v171, 3
	s_mov_b32 s0, s16
	v_writelane_b32 v171, s80, 0
	v_writelane_b32 v171, s81, 1
	s_delay_alu instid0(VALU_DEP_3) | instskip(SKIP_3) | instid1(VALU_DEP_1)
	s_mov_b32 s81, s1
	v_writelane_b32 v171, s80, 2
	v_writelane_b32 v171, s81, 3
	v_mul_f64 v[44:45], v[46:47], v[48:49]
	v_fma_f64 v[50:51], v[46:47], v[48:49], -v[44:45]
	s_delay_alu instid0(VALU_DEP_1) | instskip(SKIP_1) | instid1(VALU_DEP_1)
	v_fma_f64 v[48:49], v[42:43], v[48:49], v[50:51]
	v_mul_f64 v[50:51], v[40:41], v[46:47]
	v_fma_f64 v[52:53], v[46:47], v[40:41], -v[50:51]
	s_delay_alu instid0(VALU_DEP_1) | instskip(NEXT) | instid1(VALU_DEP_4)
	v_fma_f64 v[46:47], v[46:47], v[38:39], v[52:53]
	v_add_f64 v[52:53], v[44:45], v[48:49]
	v_ldexp_f64 v[38:39], v[38:39], 1
	s_delay_alu instid0(VALU_DEP_3) | instskip(NEXT) | instid1(VALU_DEP_3)
	v_fma_f64 v[42:43], v[42:43], v[40:41], v[46:47]
	v_add_f64 v[44:45], v[52:53], -v[44:45]
	v_ldexp_f64 v[40:41], v[40:41], 1
	s_delay_alu instid0(VALU_DEP_2) | instskip(SKIP_3) | instid1(VALU_DEP_1)
	v_add_f64 v[44:45], v[48:49], -v[44:45]
	v_add_f64 v[48:49], v[52:53], s[34:35]
	s_mov_b32 s34, 0x652b82fe
	s_mov_b32 s35, 0x3ff71547
	v_add_f64 v[54:55], v[48:49], s[0:1]
	s_mov_b32 s0, 0xd5df274d
	s_mov_b32 s1, 0x3c8543b0
	s_delay_alu instid0(VALU_DEP_3) | instid1(SALU_CYCLE_1)
	v_add_f64 v[44:45], v[44:45], s[0:1]
	s_mov_b32 s0, 0xfefa39ef
	s_mov_b32 s1, 0x3fe62e42
	s_delay_alu instid0(VALU_DEP_2) | instskip(NEXT) | instid1(VALU_DEP_1)
	v_add_f64 v[52:53], v[52:53], -v[54:55]
	v_add_f64 v[44:45], v[44:45], v[52:53]
	s_delay_alu instid0(VALU_DEP_1) | instskip(NEXT) | instid1(VALU_DEP_1)
	v_add_f64 v[46:47], v[48:49], v[44:45]
	v_add_f64 v[48:49], v[48:49], -v[46:47]
	s_delay_alu instid0(VALU_DEP_1) | instskip(SKIP_1) | instid1(VALU_DEP_1)
	v_add_f64 v[44:45], v[44:45], v[48:49]
	v_add_f64 v[48:49], v[50:51], v[42:43]
	v_mul_f64 v[52:53], v[48:49], v[46:47]
	s_delay_alu instid0(VALU_DEP_1) | instskip(NEXT) | instid1(VALU_DEP_1)
	v_fma_f64 v[54:55], v[48:49], v[46:47], -v[52:53]
	v_fma_f64 v[44:45], v[48:49], v[44:45], v[54:55]
	v_add_f64 v[48:49], v[48:49], -v[50:51]
	s_delay_alu instid0(VALU_DEP_1) | instskip(NEXT) | instid1(VALU_DEP_1)
	v_add_f64 v[42:43], v[42:43], -v[48:49]
	v_fma_f64 v[42:43], v[42:43], v[46:47], v[44:45]
	v_cvt_f64_i32_e32 v[44:45], v25
	s_delay_alu instid0(VALU_DEP_1) | instskip(NEXT) | instid1(VALU_DEP_1)
	v_mul_f64 v[46:47], v[44:45], s[0:1]
	v_fma_f64 v[48:49], v[44:45], s[0:1], -v[46:47]
	s_delay_alu instid0(VALU_DEP_1) | instskip(SKIP_4) | instid1(VALU_DEP_1)
	v_fma_f64 v[44:45], v[44:45], s[82:83], v[48:49]
	v_add_f64 v[48:49], v[52:53], v[42:43]
	s_mov_b64 s[82:83], s[54:55]
	s_mov_b32 s54, 0xa34ca0c3
	s_mov_b32 s55, 0x3f28c5c9
	v_add_f64 v[50:51], v[48:49], -v[52:53]
	s_delay_alu instid0(VALU_DEP_1) | instskip(SKIP_1) | instid1(VALU_DEP_2)
	v_add_f64 v[42:43], v[42:43], -v[50:51]
	v_add_f64 v[50:51], v[40:41], v[48:49]
	v_add_f64 v[38:39], v[38:39], v[42:43]
	s_delay_alu instid0(VALU_DEP_2) | instskip(SKIP_1) | instid1(VALU_DEP_2)
	v_add_f64 v[40:41], v[50:51], -v[40:41]
	v_add_f64 v[42:43], v[46:47], v[44:45]
	v_add_f64 v[40:41], v[48:49], -v[40:41]
	s_delay_alu instid0(VALU_DEP_1) | instskip(NEXT) | instid1(VALU_DEP_3)
	v_add_f64 v[38:39], v[38:39], v[40:41]
	v_add_f64 v[40:41], v[42:43], -v[46:47]
	s_delay_alu instid0(VALU_DEP_2) | instskip(NEXT) | instid1(VALU_DEP_2)
	v_add_f64 v[46:47], v[50:51], v[38:39]
	v_add_f64 v[40:41], v[44:45], -v[40:41]
	s_delay_alu instid0(VALU_DEP_2) | instskip(SKIP_1) | instid1(VALU_DEP_2)
	v_add_f64 v[44:45], v[46:47], -v[50:51]
	v_add_f64 v[48:49], v[42:43], v[46:47]
	v_add_f64 v[38:39], v[38:39], -v[44:45]
	s_delay_alu instid0(VALU_DEP_2) | instskip(NEXT) | instid1(VALU_DEP_1)
	v_add_f64 v[44:45], v[48:49], -v[42:43]
	v_add_f64 v[46:47], v[46:47], -v[44:45]
	;; [unrolled: 1-line block ×3, first 2 shown]
	s_delay_alu instid0(VALU_DEP_1) | instskip(SKIP_1) | instid1(VALU_DEP_2)
	v_add_f64 v[42:43], v[42:43], -v[44:45]
	v_add_f64 v[44:45], v[40:41], v[38:39]
	v_add_f64 v[42:43], v[46:47], v[42:43]
	s_delay_alu instid0(VALU_DEP_2) | instskip(NEXT) | instid1(VALU_DEP_2)
	v_add_f64 v[46:47], v[44:45], -v[40:41]
	v_add_f64 v[42:43], v[44:45], v[42:43]
	s_delay_alu instid0(VALU_DEP_2) | instskip(SKIP_1) | instid1(VALU_DEP_3)
	v_add_f64 v[38:39], v[38:39], -v[46:47]
	v_add_f64 v[44:45], v[44:45], -v[46:47]
	v_add_f64 v[46:47], v[48:49], v[42:43]
	s_delay_alu instid0(VALU_DEP_2) | instskip(NEXT) | instid1(VALU_DEP_2)
	v_add_f64 v[40:41], v[40:41], -v[44:45]
	v_add_f64 v[44:45], v[46:47], -v[48:49]
	s_delay_alu instid0(VALU_DEP_2) | instskip(NEXT) | instid1(VALU_DEP_2)
	v_add_f64 v[38:39], v[38:39], v[40:41]
	v_add_f64 v[40:41], v[42:43], -v[44:45]
	v_cndmask_b32_e32 v43, 0xbfc99999, v145, vcc_lo
	v_cndmask_b32_e64 v42, 0x9999999a, 0, vcc_lo
	s_delay_alu instid0(VALU_DEP_3) | instskip(NEXT) | instid1(VALU_DEP_1)
	v_add_f64 v[38:39], v[38:39], v[40:41]
	v_add_f64 v[40:41], v[46:47], v[38:39]
	s_delay_alu instid0(VALU_DEP_1) | instskip(NEXT) | instid1(VALU_DEP_4)
	v_add_f64 v[44:45], v[40:41], -v[46:47]
	v_mul_f64 v[46:47], v[42:43], v[40:41]
	s_delay_alu instid0(VALU_DEP_2) | instskip(NEXT) | instid1(VALU_DEP_2)
	v_add_f64 v[38:39], v[38:39], -v[44:45]
	v_fma_f64 v[40:41], v[42:43], v[40:41], -v[46:47]
	v_cmp_class_f64_e64 vcc_lo, v[46:47], 0x204
	s_delay_alu instid0(VALU_DEP_2) | instskip(NEXT) | instid1(VALU_DEP_1)
	v_fma_f64 v[38:39], v[42:43], v[38:39], v[40:41]
	v_add_f64 v[40:41], v[46:47], v[38:39]
	s_delay_alu instid0(VALU_DEP_1) | instskip(SKIP_1) | instid1(VALU_DEP_2)
	v_dual_cndmask_b32 v43, v41, v47 :: v_dual_cndmask_b32 v42, v40, v46
	v_add_f64 v[40:41], v[40:41], -v[46:47]
	v_mul_f64 v[44:45], v[42:43], s[34:35]
	v_readlane_b32 s34, v171, 4
	v_readlane_b32 s35, v171, 5
	v_cmp_lt_f64_e32 vcc_lo, 0x40900000, v[42:43]
	s_delay_alu instid0(VALU_DEP_2) | instskip(NEXT) | instid1(VALU_DEP_3)
	s_mov_b32 s1, s35
	v_writelane_b32 v171, s34, 4
	v_writelane_b32 v171, s35, 5
	s_mov_b32 s34, 0x6a5dcb37
	s_mov_b32 s35, 0x3e5ade15
	v_add_f64 v[38:39], v[38:39], -v[40:41]
	v_rndne_f64_e32 v[44:45], v[44:45]
	s_delay_alu instid0(VALU_DEP_1) | instskip(SKIP_3) | instid1(VALU_DEP_2)
	v_fma_f64 v[48:49], v[44:45], s[0:1], v[42:43]
	s_mov_b32 s0, 0xfca7ab0c
	s_mov_b32 s1, 0x3e928af3
	v_cvt_i32_f64_e32 v25, v[44:45]
	v_fma_f64 v[48:49], v[44:45], s[82:83], v[48:49]
	s_delay_alu instid0(VALU_DEP_1)
	v_fma_f64 v[50:51], v[48:49], s[34:35], s[0:1]
	s_mov_b32 s0, 0x623fde64
	s_mov_b32 s1, 0x3ec71dee
	s_delay_alu instid0(VALU_DEP_1) | instid1(SALU_CYCLE_1)
	v_fma_f64 v[50:51], v[48:49], v[50:51], s[0:1]
	s_mov_b32 s0, 0x7c89e6b0
	s_mov_b32 s1, 0x3efa0199
	s_delay_alu instid0(VALU_DEP_1) | instid1(SALU_CYCLE_1)
	;; [unrolled: 4-line block ×4, first 2 shown]
	v_fma_f64 v[50:51], v[48:49], v[50:51], s[0:1]
	v_readlane_b32 s0, v171, 6
	v_readlane_b32 s1, v171, 7
	s_mov_b32 s1, s27
	s_delay_alu instid0(VALU_DEP_2) | instskip(NEXT) | instid1(SALU_CYCLE_1)
	s_mov_b32 s28, s0
	v_writelane_b32 v171, s28, 6
	v_writelane_b32 v171, s29, 7
	v_fma_f64 v[50:51], v[48:49], v[50:51], s[0:1]
	s_delay_alu instid0(VALU_DEP_2) | instskip(SKIP_2) | instid1(VALU_DEP_2)
	v_readlane_b32 s0, v171, 8
	v_readlane_b32 s1, v171, 9
	s_mov_b32 s1, s17
	s_mov_b32 s28, s0
	s_delay_alu instid0(SALU_CYCLE_1)
	v_writelane_b32 v171, s28, 8
	v_writelane_b32 v171, s29, 9
	v_fma_f64 v[50:51], v[48:49], v[50:51], s[0:1]
	s_mov_b32 s0, 0x55555511
	s_mov_b32 s1, 0x3fc55555
	s_delay_alu instid0(VALU_DEP_1) | instid1(SALU_CYCLE_1)
	v_fma_f64 v[50:51], v[48:49], v[50:51], s[0:1]
	s_mov_b32 s0, 11
	s_mov_b32 s1, 0x3fe00000
	s_delay_alu instid0(VALU_DEP_1) | instid1(SALU_CYCLE_1)
	v_fma_f64 v[50:51], v[48:49], v[50:51], s[0:1]
	v_cmp_neq_f64_e64 s0, 0x7ff00000, |v[42:43]|
	v_cmp_ngt_f64_e64 s1, 0xc090cc00, v[42:43]
	s_delay_alu instid0(VALU_DEP_3) | instskip(NEXT) | instid1(VALU_DEP_3)
	v_fma_f64 v[50:51], v[48:49], v[50:51], 1.0
	v_cndmask_b32_e64 v39, 0, v39, s0
	v_cndmask_b32_e64 v38, 0, v38, s0
	s_delay_alu instid0(VALU_DEP_3) | instskip(NEXT) | instid1(VALU_DEP_1)
	v_fma_f64 v[44:45], v[48:49], v[50:51], 1.0
	v_ldexp_f64 v[44:45], v[44:45], v25
	s_delay_alu instid0(VALU_DEP_1) | instskip(NEXT) | instid1(VALU_DEP_2)
	v_cndmask_b32_e64 v25, v45, 0x7ff00000, vcc_lo
	v_cndmask_b32_e64 v40, v44, 0, vcc_lo
	s_delay_alu instid0(VALU_DEP_2) | instskip(NEXT) | instid1(VALU_DEP_2)
	v_cndmask_b32_e64 v41, 0, v25, s1
	v_cndmask_b32_e64 v40, 0, v40, s1
	s_delay_alu instid0(VALU_DEP_1) | instskip(SKIP_1) | instid1(VALU_DEP_1)
	v_fma_f64 v[38:39], v[40:41], v[38:39], v[40:41]
	v_and_b32_e32 v45, 0x7fffffff, v45
	v_cmp_eq_f64_e64 s0, 0x7ff00000, v[44:45]
	s_delay_alu instid0(VALU_DEP_1) | instskip(NEXT) | instid1(SALU_CYCLE_1)
	s_or_b32 s0, vcc_lo, s0
	s_and_b32 vcc_lo, s1, s0
	s_delay_alu instid0(VALU_DEP_3) | instskip(NEXT) | instid1(VALU_DEP_1)
	v_dual_cndmask_b32 v38, v38, v40 :: v_dual_cndmask_b32 v39, v39, v41
	v_mul_f64 v[80:81], v[36:37], |v[38:39]|
.LBB0_142:                              ;   in Loop: Header=BB0_78 Depth=1
	s_or_b32 exec_lo, exec_lo, s2
	s_mov_b32 s0, 0x43b990ee
	s_mov_b32 s1, 0x3fb90ee6
                                        ; implicit-def: $sgpr2
	s_delay_alu instid0(SALU_CYCLE_1) | instskip(SKIP_1) | instid1(VALU_DEP_2)
	v_fma_f64 v[2:3], v[62:63], s[0:1], v[2:3]
	v_fma_f64 v[34:35], v[34:35], s[0:1], v[4:5]
	v_fma_f64 v[2:3], v[70:71], s[58:59], v[2:3]
	s_delay_alu instid0(VALU_DEP_2) | instskip(NEXT) | instid1(VALU_DEP_2)
	v_fma_f64 v[34:35], v[66:67], s[58:59], v[34:35]
	v_fma_f64 v[2:3], v[78:79], s[64:65], v[2:3]
	s_delay_alu instid0(VALU_DEP_2) | instskip(NEXT) | instid1(VALU_DEP_2)
	v_fma_f64 v[34:35], v[72:73], s[64:65], v[34:35]
	v_fma_f64 v[2:3], v[115:116], s[66:67], v[2:3]
	s_delay_alu instid0(VALU_DEP_2) | instskip(NEXT) | instid1(VALU_DEP_2)
	v_fma_f64 v[34:35], v[108:109], s[66:67], v[34:35]
	v_cmp_gt_f64_e32 vcc_lo, 0x40490000, v[2:3]
	v_cmp_gt_f64_e64 s0, v[2:3], v[12:13]
	s_delay_alu instid0(VALU_DEP_1) | instskip(NEXT) | instid1(SALU_CYCLE_1)
	s_and_b32 s28, vcc_lo, s0
	s_xor_b32 s0, s28, -1
	s_and_saveexec_b32 s1, s28
; %bb.143:                              ;   in Loop: Header=BB0_78 Depth=1
	s_mov_b32 s81, s89
	s_and_not1_b32 s0, s0, exec_lo
	v_add_f64 v[4:5], v[4:5], s[80:81]
	s_delay_alu instid0(VALU_DEP_4) | instskip(SKIP_1) | instid1(VALU_DEP_1)
	v_add_f64 v[36:37], v[34:35], s[80:81]
	s_mov_b32 s2, -1
	v_mul_f64 v[4:5], v[4:5], v[36:37]
	s_delay_alu instid0(VALU_DEP_1) | instskip(SKIP_1) | instid1(SALU_CYCLE_1)
	v_cmp_ngt_f64_e32 vcc_lo, 0, v[4:5]
	s_and_b32 s28, vcc_lo, exec_lo
	s_or_b32 s0, s0, s28
; %bb.144:                              ;   in Loop: Header=BB0_78 Depth=1
	s_or_b32 exec_lo, exec_lo, s1
	s_delay_alu instid0(SALU_CYCLE_1)
	s_and_not1_b32 s1, s33, exec_lo
	s_and_b32 s28, s2, exec_lo
	s_mov_b32 s2, -1
	s_or_b32 s33, s1, s28
	s_and_saveexec_b32 s1, s0
	s_cbranch_execz .LBB0_77
; %bb.145:                              ;   in Loop: Header=BB0_78 Depth=1
	s_mov_b32 s34, 0x43b990ee
	s_mov_b32 s35, 0x3fb90ee6
	v_cmp_lt_f64_e32 vcc_lo, 0x408f4000, v[2:3]
	v_fma_f64 v[4:5], v[60:61], s[34:35], v[18:19]
	v_cmp_lt_f64_e64 s0, 0, v[32:33]
	s_and_not1_b32 s33, s33, exec_lo
	s_delay_alu instid0(VALU_DEP_2) | instskip(NEXT) | instid1(VALU_DEP_2)
	v_fma_f64 v[4:5], v[68:69], s[58:59], v[4:5]
	s_and_b32 s0, vcc_lo, s0
	v_cmp_lt_f64_e32 vcc_lo, v[2:3], v[10:11]
	s_delay_alu instid0(VALU_DEP_2) | instskip(SKIP_1) | instid1(SALU_CYCLE_1)
	v_fma_f64 v[4:5], v[76:77], s[64:65], v[4:5]
	s_or_b32 s0, vcc_lo, s0
	s_or_not1_b32 s2, s0, exec_lo
	s_delay_alu instid0(VALU_DEP_1) | instskip(SKIP_1) | instid1(VALU_DEP_1)
	v_fma_f64 v[18:19], v[102:103], s[66:67], v[4:5]
	v_fma_f64 v[4:5], v[64:65], s[34:35], v[16:17]
	;; [unrolled: 1-line block ×3, first 2 shown]
	s_delay_alu instid0(VALU_DEP_1) | instskip(NEXT) | instid1(VALU_DEP_1)
	v_fma_f64 v[4:5], v[98:99], s[64:65], v[4:5]
	v_fma_f64 v[16:17], v[100:101], s[66:67], v[4:5]
	;; [unrolled: 1-line block ×3, first 2 shown]
	s_delay_alu instid0(VALU_DEP_1) | instskip(NEXT) | instid1(VALU_DEP_1)
	v_fma_f64 v[4:5], v[92:93], s[58:59], v[4:5]
	v_fma_f64 v[4:5], v[96:97], s[64:65], v[4:5]
	s_delay_alu instid0(VALU_DEP_1) | instskip(SKIP_1) | instid1(VALU_DEP_1)
	v_fma_f64 v[30:31], v[86:87], s[66:67], v[4:5]
	v_fma_f64 v[4:5], v[88:89], s[34:35], v[8:9]
	;; [unrolled: 1-line block ×3, first 2 shown]
	s_delay_alu instid0(VALU_DEP_1) | instskip(NEXT) | instid1(VALU_DEP_1)
	v_fma_f64 v[4:5], v[94:95], s[64:65], v[4:5]
	v_fma_f64 v[8:9], v[82:83], s[66:67], v[4:5]
	s_branch .LBB0_77
.LBB0_146:
	s_or_b32 exec_lo, exec_lo, s30
	s_and_saveexec_b32 s0, s31
	s_delay_alu instid0(SALU_CYCLE_1)
	s_xor_b32 s0, exec_lo, s0
	s_cbranch_execz .LBB0_148
; %bb.147:
	v_cmp_gt_f64_e32 vcc_lo, 0x10000000, v[2:3]
	v_cndmask_b32_e64 v4, 0, 1, vcc_lo
	s_delay_alu instid0(VALU_DEP_1) | instskip(NEXT) | instid1(VALU_DEP_1)
	v_lshlrev_b32_e32 v4, 8, v4
	v_ldexp_f64 v[4:5], v[2:3], v4
	s_delay_alu instid0(VALU_DEP_1) | instskip(SKIP_3) | instid1(VALU_DEP_1)
	v_rsq_f64_e32 v[6:7], v[4:5]
	s_waitcnt_depctr 0xfff
	v_mul_f64 v[8:9], v[4:5], v[6:7]
	v_mul_f64 v[6:7], v[6:7], 0.5
	v_fma_f64 v[10:11], -v[6:7], v[8:9], 0.5
	s_delay_alu instid0(VALU_DEP_1) | instskip(SKIP_1) | instid1(VALU_DEP_2)
	v_fma_f64 v[8:9], v[8:9], v[10:11], v[8:9]
	v_fma_f64 v[6:7], v[6:7], v[10:11], v[6:7]
	v_fma_f64 v[10:11], -v[8:9], v[8:9], v[4:5]
	s_delay_alu instid0(VALU_DEP_1) | instskip(NEXT) | instid1(VALU_DEP_1)
	v_fma_f64 v[8:9], v[10:11], v[6:7], v[8:9]
	v_fma_f64 v[10:11], -v[8:9], v[8:9], v[4:5]
	s_delay_alu instid0(VALU_DEP_1) | instskip(SKIP_3) | instid1(VALU_DEP_2)
	v_fma_f64 v[6:7], v[10:11], v[6:7], v[8:9]
	v_mul_f64 v[8:9], v[2:3], v[2:3]
	v_cndmask_b32_e64 v10, 0, 0xffffff80, vcc_lo
	v_cmp_class_f64_e64 vcc_lo, v[4:5], 0x260
	v_ldexp_f64 v[6:7], v[6:7], v10
	s_delay_alu instid0(VALU_DEP_4) | instskip(NEXT) | instid1(VALU_DEP_2)
	v_fma_f64 v[10:11], 0xc0080000, v[2:3], v[8:9]
	v_dual_cndmask_b32 v5, v7, v5 :: v_dual_cndmask_b32 v4, v6, v4
	s_delay_alu instid0(VALU_DEP_1) | instskip(SKIP_1) | instid1(VALU_DEP_2)
	v_fma_f64 v[0:1], v[0:1], v[4:5], v[10:11]
	v_div_scale_f64 v[10:11], null, v[4:5], v[4:5], v[14:15]
	v_cmp_gt_f64_e32 vcc_lo, 0x10000000, v[0:1]
	s_delay_alu instid0(VALU_DEP_2) | instskip(SKIP_4) | instid1(VALU_DEP_1)
	v_rcp_f64_e32 v[16:17], v[10:11]
	v_cndmask_b32_e64 v6, 0, 1, vcc_lo
	s_waitcnt_depctr 0xfff
	v_fma_f64 v[20:21], -v[10:11], v[16:17], 1.0
	v_lshlrev_b32_e32 v6, 8, v6
	v_ldexp_f64 v[0:1], v[0:1], v6
	s_delay_alu instid0(VALU_DEP_3) | instskip(NEXT) | instid1(VALU_DEP_2)
	v_fma_f64 v[16:17], v[16:17], v[20:21], v[16:17]
	v_rsq_f64_e32 v[6:7], v[0:1]
	v_cmp_class_f64_e64 s1, v[0:1], 0x260
	s_delay_alu instid0(VALU_DEP_2) | instskip(SKIP_4) | instid1(VALU_DEP_2)
	v_fma_f64 v[20:21], -v[10:11], v[16:17], 1.0
	s_waitcnt_depctr 0xfff
	v_mul_f64 v[12:13], v[0:1], v[6:7]
	v_mul_f64 v[6:7], v[6:7], 0.5
	v_fma_f64 v[16:17], v[16:17], v[20:21], v[16:17]
	v_fma_f64 v[18:19], -v[6:7], v[12:13], 0.5
	s_delay_alu instid0(VALU_DEP_1) | instskip(SKIP_1) | instid1(VALU_DEP_2)
	v_fma_f64 v[12:13], v[12:13], v[18:19], v[12:13]
	v_fma_f64 v[6:7], v[6:7], v[18:19], v[6:7]
	v_fma_f64 v[18:19], -v[12:13], v[12:13], v[0:1]
	s_delay_alu instid0(VALU_DEP_1) | instskip(SKIP_1) | instid1(VALU_DEP_2)
	v_fma_f64 v[12:13], v[18:19], v[6:7], v[12:13]
	v_div_scale_f64 v[18:19], s0, v[14:15], v[4:5], v[14:15]
	v_fma_f64 v[20:21], -v[12:13], v[12:13], v[0:1]
	s_delay_alu instid0(VALU_DEP_2) | instskip(NEXT) | instid1(VALU_DEP_2)
	v_mul_f64 v[22:23], v[18:19], v[16:17]
	v_fma_f64 v[6:7], v[20:21], v[6:7], v[12:13]
	s_delay_alu instid0(VALU_DEP_2) | instskip(SKIP_2) | instid1(VALU_DEP_1)
	v_fma_f64 v[10:11], -v[10:11], v[22:23], v[18:19]
	v_cndmask_b32_e64 v12, 0, 0xffffff80, vcc_lo
	s_mov_b32 vcc_lo, s0
	v_ldexp_f64 v[6:7], v[6:7], v12
	s_delay_alu instid0(VALU_DEP_3) | instskip(NEXT) | instid1(VALU_DEP_2)
	v_div_fmas_f64 v[10:11], v[10:11], v[16:17], v[22:23]
	v_cndmask_b32_e64 v1, v7, v1, s1
	s_delay_alu instid0(VALU_DEP_3) | instskip(NEXT) | instid1(VALU_DEP_3)
	v_cndmask_b32_e64 v0, v6, v0, s1
	v_div_fixup_f64 v[6:7], v[10:11], v[4:5], v[14:15]
	v_fma_f64 v[4:5], s[8:9], v[4:5], v[8:9]
	s_delay_alu instid0(VALU_DEP_3) | instskip(NEXT) | instid1(VALU_DEP_3)
	v_mul_f64 v[2:3], v[2:3], v[0:1]
	v_div_scale_f64 v[8:9], null, v[0:1], v[0:1], v[6:7]
	v_div_scale_f64 v[20:21], vcc_lo, v[6:7], v[0:1], v[6:7]
	s_delay_alu instid0(VALU_DEP_3) | instskip(NEXT) | instid1(VALU_DEP_3)
	v_div_scale_f64 v[10:11], null, v[2:3], v[2:3], v[4:5]
	v_rcp_f64_e32 v[12:13], v[8:9]
	s_delay_alu instid0(VALU_DEP_1) | instskip(SKIP_3) | instid1(VALU_DEP_2)
	v_rcp_f64_e32 v[14:15], v[10:11]
	s_waitcnt_depctr 0xfff
	v_fma_f64 v[16:17], -v[8:9], v[12:13], 1.0
	v_fma_f64 v[18:19], -v[10:11], v[14:15], 1.0
	v_fma_f64 v[12:13], v[12:13], v[16:17], v[12:13]
	s_delay_alu instid0(VALU_DEP_2) | instskip(NEXT) | instid1(VALU_DEP_2)
	v_fma_f64 v[14:15], v[14:15], v[18:19], v[14:15]
	v_fma_f64 v[16:17], -v[8:9], v[12:13], 1.0
	s_delay_alu instid0(VALU_DEP_2) | instskip(NEXT) | instid1(VALU_DEP_2)
	v_fma_f64 v[18:19], -v[10:11], v[14:15], 1.0
	v_fma_f64 v[12:13], v[12:13], v[16:17], v[12:13]
	v_div_scale_f64 v[16:17], s0, v[4:5], v[2:3], v[4:5]
	s_delay_alu instid0(VALU_DEP_3) | instskip(NEXT) | instid1(VALU_DEP_3)
	v_fma_f64 v[14:15], v[14:15], v[18:19], v[14:15]
	v_mul_f64 v[18:19], v[20:21], v[12:13]
	s_delay_alu instid0(VALU_DEP_2) | instskip(NEXT) | instid1(VALU_DEP_2)
	v_mul_f64 v[22:23], v[16:17], v[14:15]
	v_fma_f64 v[8:9], -v[8:9], v[18:19], v[20:21]
	s_delay_alu instid0(VALU_DEP_2) | instskip(NEXT) | instid1(VALU_DEP_2)
	v_fma_f64 v[10:11], -v[10:11], v[22:23], v[16:17]
	v_div_fmas_f64 v[8:9], v[8:9], v[12:13], v[18:19]
	s_mov_b32 vcc_lo, s0
	s_delay_alu instid0(VALU_DEP_2) | instskip(NEXT) | instid1(VALU_DEP_2)
	v_div_fmas_f64 v[10:11], v[10:11], v[14:15], v[22:23]
	v_div_fixup_f64 v[0:1], v[8:9], v[0:1], v[6:7]
	s_delay_alu instid0(VALU_DEP_2) | instskip(NEXT) | instid1(VALU_DEP_1)
	v_div_fixup_f64 v[2:3], v[10:11], v[2:3], v[4:5]
	v_add_f64 v[0:1], v[0:1], -v[2:3]
	s_delay_alu instid0(VALU_DEP_1) | instskip(NEXT) | instid1(VALU_DEP_1)
	v_div_scale_f64 v[2:3], null, v[0:1], v[0:1], -1.0
	v_rcp_f64_e32 v[4:5], v[2:3]
	s_waitcnt_depctr 0xfff
	v_fma_f64 v[6:7], -v[2:3], v[4:5], 1.0
	s_delay_alu instid0(VALU_DEP_1) | instskip(NEXT) | instid1(VALU_DEP_1)
	v_fma_f64 v[4:5], v[4:5], v[6:7], v[4:5]
	v_fma_f64 v[6:7], -v[2:3], v[4:5], 1.0
	s_delay_alu instid0(VALU_DEP_1) | instskip(SKIP_1) | instid1(VALU_DEP_1)
	v_fma_f64 v[4:5], v[4:5], v[6:7], v[4:5]
	v_div_scale_f64 v[6:7], vcc_lo, -1.0, v[0:1], -1.0
	v_mul_f64 v[8:9], v[6:7], v[4:5]
	s_delay_alu instid0(VALU_DEP_1) | instskip(NEXT) | instid1(VALU_DEP_1)
	v_fma_f64 v[2:3], -v[2:3], v[8:9], v[6:7]
	v_div_fmas_f64 v[2:3], v[2:3], v[4:5], v[8:9]
	s_delay_alu instid0(VALU_DEP_1)
	v_div_fixup_f64 v[0:1], v[2:3], v[0:1], -1.0
	global_store_b64 v[26:27], v[0:1], off
.LBB0_148:
	s_nop 0
	s_sendmsg sendmsg(MSG_DEALLOC_VGPRS)
	s_endpgm
	.section	.rodata,"a",@progbits
	.p2align	6, 0x0
	.amdhsa_kernel _Z5task1PdS_ii
		.amdhsa_group_segment_fixed_size 0
		.amdhsa_private_segment_fixed_size 0
		.amdhsa_kernarg_size 280
		.amdhsa_user_sgpr_count 14
		.amdhsa_user_sgpr_dispatch_ptr 0
		.amdhsa_user_sgpr_queue_ptr 0
		.amdhsa_user_sgpr_kernarg_segment_ptr 1
		.amdhsa_user_sgpr_dispatch_id 0
		.amdhsa_user_sgpr_private_segment_size 0
		.amdhsa_wavefront_size32 1
		.amdhsa_uses_dynamic_stack 0
		.amdhsa_enable_private_segment 0
		.amdhsa_system_sgpr_workgroup_id_x 1
		.amdhsa_system_sgpr_workgroup_id_y 1
		.amdhsa_system_sgpr_workgroup_id_z 0
		.amdhsa_system_sgpr_workgroup_info 0
		.amdhsa_system_vgpr_workitem_id 1
		.amdhsa_next_free_vgpr 172
		.amdhsa_next_free_sgpr 104
		.amdhsa_reserve_vcc 1
		.amdhsa_float_round_mode_32 0
		.amdhsa_float_round_mode_16_64 0
		.amdhsa_float_denorm_mode_32 3
		.amdhsa_float_denorm_mode_16_64 3
		.amdhsa_dx10_clamp 1
		.amdhsa_ieee_mode 1
		.amdhsa_fp16_overflow 0
		.amdhsa_workgroup_processor_mode 1
		.amdhsa_memory_ordered 1
		.amdhsa_forward_progress 0
		.amdhsa_shared_vgpr_count 0
		.amdhsa_exception_fp_ieee_invalid_op 0
		.amdhsa_exception_fp_denorm_src 0
		.amdhsa_exception_fp_ieee_div_zero 0
		.amdhsa_exception_fp_ieee_overflow 0
		.amdhsa_exception_fp_ieee_underflow 0
		.amdhsa_exception_fp_ieee_inexact 0
		.amdhsa_exception_int_div_zero 0
	.end_amdhsa_kernel
	.text
.Lfunc_end0:
	.size	_Z5task1PdS_ii, .Lfunc_end0-_Z5task1PdS_ii
                                        ; -- End function
	.section	.AMDGPU.csdata,"",@progbits
; Kernel info:
; codeLenInByte = 58804
; NumSgprs: 106
; NumVgprs: 172
; ScratchSize: 0
; MemoryBound: 1
; FloatMode: 240
; IeeeMode: 1
; LDSByteSize: 0 bytes/workgroup (compile time only)
; SGPRBlocks: 13
; VGPRBlocks: 21
; NumSGPRsForWavesPerEU: 106
; NumVGPRsForWavesPerEU: 172
; Occupancy: 8
; WaveLimiterHint : 0
; COMPUTE_PGM_RSRC2:SCRATCH_EN: 0
; COMPUTE_PGM_RSRC2:USER_SGPR: 14
; COMPUTE_PGM_RSRC2:TRAP_HANDLER: 0
; COMPUTE_PGM_RSRC2:TGID_X_EN: 1
; COMPUTE_PGM_RSRC2:TGID_Y_EN: 1
; COMPUTE_PGM_RSRC2:TGID_Z_EN: 0
; COMPUTE_PGM_RSRC2:TIDIG_COMP_CNT: 1
	.text
	.protected	_Z5task2PdS_ii          ; -- Begin function _Z5task2PdS_ii
	.globl	_Z5task2PdS_ii
	.p2align	8
	.type	_Z5task2PdS_ii,@function
_Z5task2PdS_ii:                         ; @_Z5task2PdS_ii
; %bb.0:
	s_clause 0x2
	s_load_b128 s[16:19], s[0:1], 0x8
	s_load_b32 s4, s[0:1], 0x18
	s_load_b32 s5, s[0:1], 0x24
	v_and_b32_e32 v1, 0x3ff, v0
	s_add_u32 s2, s0, 24
	s_addc_u32 s3, s1, 0
	s_waitcnt lgkmcnt(0)
	s_load_b64 s[6:7], s[16:17], 0x10
	s_mul_i32 s4, s4, s18
	s_and_b32 s5, s5, 0xffff
	s_add_i32 s4, s4, s14
	s_delay_alu instid0(SALU_CYCLE_1) | instskip(SKIP_1) | instid1(VALU_DEP_1)
	v_mad_u64_u32 v[24:25], null, s4, s5, v[1:2]
	s_mov_b32 s4, exec_lo
	v_cvt_f64_u32_e32 v[1:2], v24
	s_waitcnt lgkmcnt(0)
	s_delay_alu instid0(VALU_DEP_1)
	v_cmpx_nle_f64_e32 s[6:7], v[1:2]
	s_cbranch_execz .LBB1_175
; %bb.1:
	s_clause 0x1
	s_load_b32 s4, s[2:3], 0x4
	s_load_b32 s2, s[2:3], 0xc
	v_bfe_u32 v0, v0, 10, 10
	s_waitcnt lgkmcnt(0)
	s_mul_i32 s3, s4, s19
	s_lshr_b32 s2, s2, 16
	s_add_i32 s3, s3, s15
	s_delay_alu instid0(SALU_CYCLE_1) | instskip(NEXT) | instid1(VALU_DEP_1)
	v_mad_u64_u32 v[25:26], null, s3, s2, v[0:1]
	v_cvt_f64_u32_e32 v[3:4], v25
	s_delay_alu instid0(VALU_DEP_1)
	v_cmp_nle_f64_e32 vcc_lo, s[6:7], v[3:4]
	s_and_b32 exec_lo, exec_lo, vcc_lo
	s_cbranch_execz .LBB1_175
; %bb.2:
	s_load_b128 s[8:11], s[16:17], 0x0
	s_mov_b32 s2, 0xa1fae712
	s_mov_b32 s3, 0x3f91df46
                                        ; implicit-def: $vgpr184 : SGPR spill to VGPR lane
	v_writelane_b32 v184, s6, 0
	v_writelane_b32 v184, s7, 1
	s_waitcnt lgkmcnt(0)
	v_mul_f64 v[5:6], s[10:11], s[2:3]
	s_delay_alu instid0(VALU_DEP_1) | instskip(NEXT) | instid1(VALU_DEP_2)
	v_readfirstlane_b32 s6, v5
	v_readfirstlane_b32 s7, v6
	v_cmp_ngt_f64_e64 s24, 0x41d00000, |v[5:6]|
	s_delay_alu instid0(VALU_DEP_2)
	v_trig_preop_f64 v[10:11], |s[6:7]|, 0
	v_trig_preop_f64 v[8:9], |s[6:7]|, 1
	v_cmp_le_f64_e64 s2, 0x7b000000, |s[6:7]|
	v_ldexp_f64 v[12:13], |s[6:7]|, 0xffffff80
	v_trig_preop_f64 v[6:7], |s[6:7]|, 2
	s_and_b32 vcc_lo, exec_lo, s24
	s_cbranch_vccz .LBB1_4
; %bb.3:
	s_and_b32 s3, s7, 0x7fffffff
	s_delay_alu instid0(VALU_DEP_2) | instskip(NEXT) | instid1(VALU_DEP_3)
	v_cndmask_b32_e64 v14, s6, v12, s2
	v_cndmask_b32_e64 v15, s3, v13, s2
	s_mov_b32 s4, 0
	s_mov_b32 s10, 0x33145c07
	s_mov_b32 s11, 0x3c91a626
	s_delay_alu instid0(VALU_DEP_1) | instskip(SKIP_2) | instid1(VALU_DEP_3)
	v_mul_f64 v[16:17], v[10:11], v[14:15]
	v_mul_f64 v[18:19], v[8:9], v[14:15]
	v_mul_f64 v[32:33], v[6:7], v[14:15]
	v_fma_f64 v[20:21], v[10:11], v[14:15], -v[16:17]
	s_delay_alu instid0(VALU_DEP_3) | instskip(NEXT) | instid1(VALU_DEP_3)
	v_fma_f64 v[34:35], v[8:9], v[14:15], -v[18:19]
	v_fma_f64 v[14:15], v[6:7], v[14:15], -v[32:33]
	s_delay_alu instid0(VALU_DEP_3) | instskip(NEXT) | instid1(VALU_DEP_1)
	v_add_f64 v[22:23], v[18:19], v[20:21]
	v_add_f64 v[26:27], v[22:23], -v[18:19]
	v_add_f64 v[30:31], v[16:17], v[22:23]
	s_delay_alu instid0(VALU_DEP_2) | instskip(SKIP_1) | instid1(VALU_DEP_3)
	v_add_f64 v[28:29], v[22:23], -v[26:27]
	v_add_f64 v[20:21], v[20:21], -v[26:27]
	v_ldexp_f64 v[26:27], v[30:31], -2
	v_add_f64 v[16:17], v[30:31], -v[16:17]
	s_delay_alu instid0(VALU_DEP_4) | instskip(SKIP_1) | instid1(VALU_DEP_4)
	v_add_f64 v[18:19], v[18:19], -v[28:29]
	v_add_f64 v[28:29], v[32:33], v[34:35]
	v_cmp_neq_f64_e64 vcc_lo, 0x7ff00000, |v[26:27]|
	s_delay_alu instid0(VALU_DEP_4) | instskip(NEXT) | instid1(VALU_DEP_4)
	v_add_f64 v[16:17], v[22:23], -v[16:17]
	v_add_f64 v[18:19], v[20:21], v[18:19]
	v_fract_f64_e32 v[20:21], v[26:27]
	s_delay_alu instid0(VALU_DEP_2) | instskip(NEXT) | instid1(VALU_DEP_2)
	v_add_f64 v[22:23], v[28:29], v[18:19]
	v_dual_cndmask_b32 v21, 0, v21 :: v_dual_cndmask_b32 v20, 0, v20
	s_delay_alu instid0(VALU_DEP_1) | instskip(NEXT) | instid1(VALU_DEP_3)
	v_ldexp_f64 v[20:21], v[20:21], 2
	v_add_f64 v[26:27], v[16:17], v[22:23]
	v_add_f64 v[36:37], v[22:23], -v[28:29]
	s_delay_alu instid0(VALU_DEP_2) | instskip(NEXT) | instid1(VALU_DEP_2)
	v_add_f64 v[30:31], v[26:27], v[20:21]
	v_add_f64 v[42:43], v[22:23], -v[36:37]
	v_add_f64 v[18:19], v[18:19], -v[36:37]
	;; [unrolled: 1-line block ×3, first 2 shown]
	s_delay_alu instid0(VALU_DEP_4) | instskip(SKIP_1) | instid1(VALU_DEP_3)
	v_cmp_gt_f64_e32 vcc_lo, 0, v[30:31]
	v_add_f64 v[30:31], v[28:29], -v[32:33]
	v_add_f64 v[16:17], v[22:23], -v[16:17]
	s_and_b32 s2, vcc_lo, exec_lo
	s_cselect_b32 s5, 0x40100000, 0
	s_delay_alu instid0(VALU_DEP_2) | instskip(SKIP_3) | instid1(VALU_DEP_4)
	v_add_f64 v[40:41], v[28:29], -v[30:31]
	v_add_f64 v[20:21], v[20:21], s[4:5]
	v_add_f64 v[30:31], v[34:35], -v[30:31]
	v_add_f64 v[28:29], v[28:29], -v[42:43]
	;; [unrolled: 1-line block ×3, first 2 shown]
	s_delay_alu instid0(VALU_DEP_4) | instskip(NEXT) | instid1(VALU_DEP_3)
	v_add_f64 v[38:39], v[26:27], v[20:21]
	v_add_f64 v[18:19], v[18:19], v[28:29]
	s_delay_alu instid0(VALU_DEP_3) | instskip(NEXT) | instid1(VALU_DEP_3)
	v_add_f64 v[30:31], v[30:31], v[34:35]
	v_cvt_i32_f64_e32 v0, v[38:39]
	s_delay_alu instid0(VALU_DEP_2) | instskip(NEXT) | instid1(VALU_DEP_2)
	v_add_f64 v[18:19], v[30:31], v[18:19]
	v_cvt_f64_i32_e32 v[36:37], v0
	s_delay_alu instid0(VALU_DEP_2) | instskip(NEXT) | instid1(VALU_DEP_2)
	v_add_f64 v[14:15], v[14:15], v[18:19]
	v_add_f64 v[20:21], v[20:21], -v[36:37]
	s_delay_alu instid0(VALU_DEP_2) | instskip(NEXT) | instid1(VALU_DEP_2)
	v_add_f64 v[14:15], v[16:17], v[14:15]
	v_add_f64 v[28:29], v[26:27], v[20:21]
	s_delay_alu instid0(VALU_DEP_1) | instskip(SKIP_1) | instid1(VALU_DEP_2)
	v_add_f64 v[18:19], v[28:29], -v[20:21]
	v_cmp_le_f64_e32 vcc_lo, 0.5, v[28:29]
	v_add_f64 v[16:17], v[26:27], -v[18:19]
	s_and_b32 s2, vcc_lo, exec_lo
	s_cselect_b32 s5, 0x3ff00000, 0
	v_add_co_ci_u32_e64 v0, s2, 0, v0, vcc_lo
	s_mov_b32 s2, 0x54442d18
	s_mov_b32 s3, 0x3ff921fb
	s_delay_alu instid0(VALU_DEP_2) | instskip(SKIP_1) | instid1(VALU_DEP_1)
	v_add_f64 v[14:15], v[14:15], v[16:17]
	v_add_f64 v[16:17], v[28:29], -s[4:5]
	v_add_f64 v[18:19], v[16:17], v[14:15]
	s_delay_alu instid0(VALU_DEP_1) | instskip(SKIP_1) | instid1(VALU_DEP_2)
	v_mul_f64 v[20:21], v[18:19], s[2:3]
	v_add_f64 v[16:17], v[18:19], -v[16:17]
	v_fma_f64 v[22:23], v[18:19], s[2:3], -v[20:21]
	s_delay_alu instid0(VALU_DEP_2) | instskip(NEXT) | instid1(VALU_DEP_2)
	v_add_f64 v[14:15], v[14:15], -v[16:17]
	v_fma_f64 v[16:17], v[18:19], s[10:11], v[22:23]
	s_delay_alu instid0(VALU_DEP_1) | instskip(NEXT) | instid1(VALU_DEP_1)
	v_fma_f64 v[16:17], v[14:15], s[2:3], v[16:17]
	v_add_f64 v[14:15], v[20:21], v[16:17]
	s_delay_alu instid0(VALU_DEP_1) | instskip(NEXT) | instid1(VALU_DEP_1)
	v_add_f64 v[18:19], v[14:15], -v[20:21]
	v_add_f64 v[16:17], v[16:17], -v[18:19]
	s_cbranch_execz .LBB1_5
	s_branch .LBB1_6
.LBB1_4:
                                        ; implicit-def: $vgpr0
                                        ; implicit-def: $vgpr14_vgpr15
                                        ; implicit-def: $vgpr16_vgpr17
.LBB1_5:
	s_mov_b32 s2, 0x6dc9c883
	s_mov_b32 s3, 0x3fe45f30
	;; [unrolled: 1-line block ×3, first 2 shown]
	v_mul_f64 v[14:15], |s[6:7]|, s[2:3]
	s_mov_b32 s2, 0x54442d18
	s_mov_b32 s3, 0xbff921fb
	;; [unrolled: 1-line block ×3, first 2 shown]
	s_delay_alu instid0(VALU_DEP_1) | instskip(NEXT) | instid1(VALU_DEP_1)
	v_rndne_f64_e32 v[18:19], v[14:15]
	v_fma_f64 v[14:15], v[18:19], s[2:3], |s[6:7]|
	v_mul_f64 v[16:17], v[18:19], s[4:5]
	s_mov_b32 s2, 0x252049c0
	s_mov_b32 s3, 0xb97b839a
	v_cvt_i32_f64_e32 v0, v[18:19]
	s_delay_alu instid0(VALU_DEP_3) | instskip(NEXT) | instid1(VALU_DEP_3)
	v_fma_f64 v[22:23], v[18:19], s[4:5], v[14:15]
	v_add_f64 v[20:21], v[14:15], v[16:17]
	s_mov_b32 s5, 0x3c91a626
	s_delay_alu instid0(VALU_DEP_1) | instskip(NEXT) | instid1(VALU_DEP_3)
	v_add_f64 v[14:15], v[14:15], -v[20:21]
	v_add_f64 v[20:21], v[20:21], -v[22:23]
	s_delay_alu instid0(VALU_DEP_2) | instskip(SKIP_1) | instid1(VALU_DEP_2)
	v_add_f64 v[14:15], v[14:15], v[16:17]
	v_fma_f64 v[16:17], v[18:19], s[4:5], v[16:17]
	v_add_f64 v[14:15], v[20:21], v[14:15]
	s_delay_alu instid0(VALU_DEP_1) | instskip(NEXT) | instid1(VALU_DEP_1)
	v_add_f64 v[14:15], v[14:15], -v[16:17]
	v_fma_f64 v[16:17], v[18:19], s[2:3], v[14:15]
	s_delay_alu instid0(VALU_DEP_1) | instskip(NEXT) | instid1(VALU_DEP_1)
	v_add_f64 v[14:15], v[22:23], v[16:17]
	v_add_f64 v[20:21], v[14:15], -v[22:23]
	s_delay_alu instid0(VALU_DEP_1)
	v_add_f64 v[16:17], v[16:17], -v[20:21]
.LBB1_6:
	s_and_b32 vcc_lo, exec_lo, s24
	s_cbranch_vccz .LBB1_8
; %bb.7:
	v_cmp_le_f64_e64 vcc_lo, 0x7b000000, |s[6:7]|
	s_and_b32 s2, s7, 0x7fffffff
	s_mov_b32 s4, 0
	s_mov_b32 s10, 0x33145c07
	;; [unrolled: 1-line block ×3, first 2 shown]
	v_cndmask_b32_e32 v19, s2, v13, vcc_lo
	v_cndmask_b32_e32 v18, s6, v12, vcc_lo
	s_delay_alu instid0(VALU_DEP_1) | instskip(SKIP_2) | instid1(VALU_DEP_3)
	v_mul_f64 v[20:21], v[10:11], v[18:19]
	v_mul_f64 v[22:23], v[8:9], v[18:19]
	;; [unrolled: 1-line block ×3, first 2 shown]
	v_fma_f64 v[26:27], v[10:11], v[18:19], -v[20:21]
	s_delay_alu instid0(VALU_DEP_3) | instskip(NEXT) | instid1(VALU_DEP_3)
	v_fma_f64 v[38:39], v[8:9], v[18:19], -v[22:23]
	v_fma_f64 v[18:19], v[6:7], v[18:19], -v[36:37]
	s_delay_alu instid0(VALU_DEP_3) | instskip(NEXT) | instid1(VALU_DEP_1)
	v_add_f64 v[28:29], v[22:23], v[26:27]
	v_add_f64 v[30:31], v[28:29], -v[22:23]
	v_add_f64 v[34:35], v[20:21], v[28:29]
	s_delay_alu instid0(VALU_DEP_2) | instskip(SKIP_1) | instid1(VALU_DEP_3)
	v_add_f64 v[32:33], v[28:29], -v[30:31]
	v_add_f64 v[26:27], v[26:27], -v[30:31]
	v_ldexp_f64 v[30:31], v[34:35], -2
	v_add_f64 v[20:21], v[34:35], -v[20:21]
	s_delay_alu instid0(VALU_DEP_4) | instskip(SKIP_1) | instid1(VALU_DEP_4)
	v_add_f64 v[22:23], v[22:23], -v[32:33]
	v_add_f64 v[32:33], v[36:37], v[38:39]
	v_cmp_neq_f64_e64 vcc_lo, 0x7ff00000, |v[30:31]|
	s_delay_alu instid0(VALU_DEP_4) | instskip(NEXT) | instid1(VALU_DEP_4)
	v_add_f64 v[20:21], v[28:29], -v[20:21]
	v_add_f64 v[22:23], v[26:27], v[22:23]
	v_fract_f64_e32 v[26:27], v[30:31]
	s_delay_alu instid0(VALU_DEP_2) | instskip(NEXT) | instid1(VALU_DEP_2)
	v_add_f64 v[28:29], v[32:33], v[22:23]
	v_dual_cndmask_b32 v27, 0, v27 :: v_dual_cndmask_b32 v26, 0, v26
	s_delay_alu instid0(VALU_DEP_1) | instskip(NEXT) | instid1(VALU_DEP_3)
	v_ldexp_f64 v[26:27], v[26:27], 2
	v_add_f64 v[30:31], v[20:21], v[28:29]
	v_add_f64 v[40:41], v[28:29], -v[32:33]
	s_delay_alu instid0(VALU_DEP_2) | instskip(NEXT) | instid1(VALU_DEP_2)
	v_add_f64 v[34:35], v[30:31], v[26:27]
	v_add_f64 v[46:47], v[28:29], -v[40:41]
	v_add_f64 v[22:23], v[22:23], -v[40:41]
	;; [unrolled: 1-line block ×3, first 2 shown]
	s_delay_alu instid0(VALU_DEP_4) | instskip(SKIP_1) | instid1(VALU_DEP_3)
	v_cmp_gt_f64_e32 vcc_lo, 0, v[34:35]
	v_add_f64 v[34:35], v[32:33], -v[36:37]
	v_add_f64 v[20:21], v[28:29], -v[20:21]
	s_and_b32 s2, vcc_lo, exec_lo
	s_cselect_b32 s5, 0x40100000, 0
	s_delay_alu instid0(VALU_DEP_2) | instskip(SKIP_3) | instid1(VALU_DEP_4)
	v_add_f64 v[44:45], v[32:33], -v[34:35]
	v_add_f64 v[26:27], v[26:27], s[4:5]
	v_add_f64 v[34:35], v[38:39], -v[34:35]
	v_add_f64 v[32:33], v[32:33], -v[46:47]
	;; [unrolled: 1-line block ×3, first 2 shown]
	s_delay_alu instid0(VALU_DEP_4) | instskip(NEXT) | instid1(VALU_DEP_3)
	v_add_f64 v[42:43], v[30:31], v[26:27]
	v_add_f64 v[22:23], v[22:23], v[32:33]
	s_delay_alu instid0(VALU_DEP_3) | instskip(NEXT) | instid1(VALU_DEP_3)
	v_add_f64 v[34:35], v[34:35], v[38:39]
	v_cvt_i32_f64_e32 v5, v[42:43]
	s_delay_alu instid0(VALU_DEP_2) | instskip(NEXT) | instid1(VALU_DEP_2)
	v_add_f64 v[22:23], v[34:35], v[22:23]
	v_cvt_f64_i32_e32 v[40:41], v5
	s_delay_alu instid0(VALU_DEP_2) | instskip(NEXT) | instid1(VALU_DEP_2)
	v_add_f64 v[18:19], v[18:19], v[22:23]
	v_add_f64 v[26:27], v[26:27], -v[40:41]
	s_delay_alu instid0(VALU_DEP_2) | instskip(NEXT) | instid1(VALU_DEP_2)
	v_add_f64 v[18:19], v[20:21], v[18:19]
	v_add_f64 v[32:33], v[30:31], v[26:27]
	s_delay_alu instid0(VALU_DEP_1) | instskip(SKIP_1) | instid1(VALU_DEP_2)
	v_add_f64 v[22:23], v[32:33], -v[26:27]
	v_cmp_le_f64_e32 vcc_lo, 0.5, v[32:33]
	v_add_f64 v[20:21], v[30:31], -v[22:23]
	s_and_b32 s2, vcc_lo, exec_lo
	s_cselect_b32 s5, 0x3ff00000, 0
	v_add_co_ci_u32_e64 v5, s2, 0, v5, vcc_lo
	s_mov_b32 s2, 0x54442d18
	s_mov_b32 s3, 0x3ff921fb
	s_delay_alu instid0(VALU_DEP_2) | instskip(SKIP_1) | instid1(VALU_DEP_1)
	v_add_f64 v[18:19], v[18:19], v[20:21]
	v_add_f64 v[20:21], v[32:33], -s[4:5]
	v_add_f64 v[22:23], v[20:21], v[18:19]
	s_delay_alu instid0(VALU_DEP_1) | instskip(SKIP_1) | instid1(VALU_DEP_2)
	v_mul_f64 v[26:27], v[22:23], s[2:3]
	v_add_f64 v[20:21], v[22:23], -v[20:21]
	v_fma_f64 v[28:29], v[22:23], s[2:3], -v[26:27]
	s_delay_alu instid0(VALU_DEP_2) | instskip(NEXT) | instid1(VALU_DEP_2)
	v_add_f64 v[18:19], v[18:19], -v[20:21]
	v_fma_f64 v[20:21], v[22:23], s[10:11], v[28:29]
	s_delay_alu instid0(VALU_DEP_1) | instskip(NEXT) | instid1(VALU_DEP_1)
	v_fma_f64 v[20:21], v[18:19], s[2:3], v[20:21]
	v_add_f64 v[18:19], v[26:27], v[20:21]
	s_delay_alu instid0(VALU_DEP_1) | instskip(NEXT) | instid1(VALU_DEP_1)
	v_add_f64 v[22:23], v[18:19], -v[26:27]
	v_add_f64 v[20:21], v[20:21], -v[22:23]
	s_cbranch_execz .LBB1_9
	s_branch .LBB1_10
.LBB1_8:
                                        ; implicit-def: $vgpr5
                                        ; implicit-def: $vgpr18_vgpr19
                                        ; implicit-def: $vgpr20_vgpr21
.LBB1_9:
	s_mov_b32 s2, 0x6dc9c883
	s_mov_b32 s3, 0x3fe45f30
	s_mov_b32 s5, 0xbc91a626
	v_mul_f64 v[18:19], |s[6:7]|, s[2:3]
	s_mov_b32 s2, 0x54442d18
	s_mov_b32 s3, 0xbff921fb
	;; [unrolled: 1-line block ×3, first 2 shown]
	s_delay_alu instid0(VALU_DEP_1) | instskip(NEXT) | instid1(VALU_DEP_1)
	v_rndne_f64_e32 v[22:23], v[18:19]
	v_fma_f64 v[18:19], v[22:23], s[2:3], |s[6:7]|
	v_mul_f64 v[20:21], v[22:23], s[4:5]
	s_mov_b32 s2, 0x252049c0
	s_mov_b32 s3, 0xb97b839a
	v_cvt_i32_f64_e32 v5, v[22:23]
	s_delay_alu instid0(VALU_DEP_3) | instskip(NEXT) | instid1(VALU_DEP_3)
	v_fma_f64 v[28:29], v[22:23], s[4:5], v[18:19]
	v_add_f64 v[26:27], v[18:19], v[20:21]
	s_mov_b32 s5, 0x3c91a626
	s_delay_alu instid0(VALU_DEP_1) | instskip(NEXT) | instid1(VALU_DEP_3)
	v_add_f64 v[18:19], v[18:19], -v[26:27]
	v_add_f64 v[26:27], v[26:27], -v[28:29]
	s_delay_alu instid0(VALU_DEP_2) | instskip(SKIP_1) | instid1(VALU_DEP_2)
	v_add_f64 v[18:19], v[18:19], v[20:21]
	v_fma_f64 v[20:21], v[22:23], s[4:5], v[20:21]
	v_add_f64 v[18:19], v[26:27], v[18:19]
	s_delay_alu instid0(VALU_DEP_1) | instskip(NEXT) | instid1(VALU_DEP_1)
	v_add_f64 v[18:19], v[18:19], -v[20:21]
	v_fma_f64 v[20:21], v[22:23], s[2:3], v[18:19]
	s_delay_alu instid0(VALU_DEP_1) | instskip(NEXT) | instid1(VALU_DEP_1)
	v_add_f64 v[18:19], v[28:29], v[20:21]
	v_add_f64 v[26:27], v[18:19], -v[28:29]
	s_delay_alu instid0(VALU_DEP_1)
	v_add_f64 v[20:21], v[20:21], -v[26:27]
.LBB1_10:
	s_and_b32 vcc_lo, exec_lo, s24
	s_cbranch_vccz .LBB1_12
; %bb.11:
	v_cmp_le_f64_e64 vcc_lo, 0x7b000000, |s[6:7]|
	s_and_b32 s2, s7, 0x7fffffff
	s_mov_b32 s4, 0
	s_mov_b32 s10, 0x33145c07
	;; [unrolled: 1-line block ×3, first 2 shown]
	v_cndmask_b32_e32 v23, s2, v13, vcc_lo
	v_cndmask_b32_e32 v22, s6, v12, vcc_lo
	s_delay_alu instid0(VALU_DEP_1) | instskip(SKIP_2) | instid1(VALU_DEP_3)
	v_mul_f64 v[26:27], v[10:11], v[22:23]
	v_mul_f64 v[28:29], v[8:9], v[22:23]
	;; [unrolled: 1-line block ×3, first 2 shown]
	v_fma_f64 v[30:31], v[10:11], v[22:23], -v[26:27]
	s_delay_alu instid0(VALU_DEP_3) | instskip(NEXT) | instid1(VALU_DEP_3)
	v_fma_f64 v[42:43], v[8:9], v[22:23], -v[28:29]
	v_fma_f64 v[22:23], v[6:7], v[22:23], -v[40:41]
	s_delay_alu instid0(VALU_DEP_3) | instskip(NEXT) | instid1(VALU_DEP_1)
	v_add_f64 v[32:33], v[28:29], v[30:31]
	v_add_f64 v[34:35], v[32:33], -v[28:29]
	v_add_f64 v[38:39], v[26:27], v[32:33]
	s_delay_alu instid0(VALU_DEP_2) | instskip(SKIP_1) | instid1(VALU_DEP_3)
	v_add_f64 v[36:37], v[32:33], -v[34:35]
	v_add_f64 v[30:31], v[30:31], -v[34:35]
	v_ldexp_f64 v[34:35], v[38:39], -2
	v_add_f64 v[26:27], v[38:39], -v[26:27]
	s_delay_alu instid0(VALU_DEP_4) | instskip(SKIP_1) | instid1(VALU_DEP_4)
	v_add_f64 v[28:29], v[28:29], -v[36:37]
	v_add_f64 v[36:37], v[40:41], v[42:43]
	v_cmp_neq_f64_e64 vcc_lo, 0x7ff00000, |v[34:35]|
	s_delay_alu instid0(VALU_DEP_4) | instskip(NEXT) | instid1(VALU_DEP_4)
	v_add_f64 v[26:27], v[32:33], -v[26:27]
	v_add_f64 v[28:29], v[30:31], v[28:29]
	v_fract_f64_e32 v[30:31], v[34:35]
	s_delay_alu instid0(VALU_DEP_2) | instskip(NEXT) | instid1(VALU_DEP_2)
	v_add_f64 v[32:33], v[36:37], v[28:29]
	v_dual_cndmask_b32 v31, 0, v31 :: v_dual_cndmask_b32 v30, 0, v30
	s_delay_alu instid0(VALU_DEP_1) | instskip(NEXT) | instid1(VALU_DEP_3)
	v_ldexp_f64 v[30:31], v[30:31], 2
	v_add_f64 v[34:35], v[26:27], v[32:33]
	v_add_f64 v[44:45], v[32:33], -v[36:37]
	s_delay_alu instid0(VALU_DEP_2) | instskip(NEXT) | instid1(VALU_DEP_2)
	v_add_f64 v[38:39], v[34:35], v[30:31]
	v_add_f64 v[50:51], v[32:33], -v[44:45]
	v_add_f64 v[28:29], v[28:29], -v[44:45]
	;; [unrolled: 1-line block ×3, first 2 shown]
	s_delay_alu instid0(VALU_DEP_4) | instskip(SKIP_1) | instid1(VALU_DEP_3)
	v_cmp_gt_f64_e32 vcc_lo, 0, v[38:39]
	v_add_f64 v[38:39], v[36:37], -v[40:41]
	v_add_f64 v[26:27], v[32:33], -v[26:27]
	s_and_b32 s2, vcc_lo, exec_lo
	s_cselect_b32 s5, 0x40100000, 0
	s_delay_alu instid0(VALU_DEP_2) | instskip(SKIP_3) | instid1(VALU_DEP_4)
	v_add_f64 v[48:49], v[36:37], -v[38:39]
	v_add_f64 v[30:31], v[30:31], s[4:5]
	v_add_f64 v[38:39], v[42:43], -v[38:39]
	v_add_f64 v[36:37], v[36:37], -v[50:51]
	;; [unrolled: 1-line block ×3, first 2 shown]
	s_delay_alu instid0(VALU_DEP_4) | instskip(NEXT) | instid1(VALU_DEP_3)
	v_add_f64 v[46:47], v[34:35], v[30:31]
	v_add_f64 v[28:29], v[28:29], v[36:37]
	s_delay_alu instid0(VALU_DEP_3) | instskip(NEXT) | instid1(VALU_DEP_3)
	v_add_f64 v[38:39], v[38:39], v[42:43]
	v_cvt_i32_f64_e32 v46, v[46:47]
	s_delay_alu instid0(VALU_DEP_2) | instskip(NEXT) | instid1(VALU_DEP_2)
	v_add_f64 v[28:29], v[38:39], v[28:29]
	v_cvt_f64_i32_e32 v[44:45], v46
	s_delay_alu instid0(VALU_DEP_2) | instskip(NEXT) | instid1(VALU_DEP_2)
	v_add_f64 v[22:23], v[22:23], v[28:29]
	v_add_f64 v[30:31], v[30:31], -v[44:45]
	s_delay_alu instid0(VALU_DEP_2) | instskip(NEXT) | instid1(VALU_DEP_2)
	v_add_f64 v[22:23], v[26:27], v[22:23]
	v_add_f64 v[36:37], v[34:35], v[30:31]
	s_delay_alu instid0(VALU_DEP_1) | instskip(SKIP_1) | instid1(VALU_DEP_2)
	v_add_f64 v[28:29], v[36:37], -v[30:31]
	v_cmp_le_f64_e32 vcc_lo, 0.5, v[36:37]
	v_add_f64 v[26:27], v[34:35], -v[28:29]
	s_and_b32 s2, vcc_lo, exec_lo
	s_cselect_b32 s5, 0x3ff00000, 0
	v_add_co_ci_u32_e64 v35, s2, 0, v46, vcc_lo
	s_mov_b32 s2, 0x54442d18
	s_mov_b32 s3, 0x3ff921fb
	s_delay_alu instid0(VALU_DEP_2) | instskip(SKIP_1) | instid1(VALU_DEP_1)
	v_add_f64 v[22:23], v[22:23], v[26:27]
	v_add_f64 v[26:27], v[36:37], -s[4:5]
	v_add_f64 v[28:29], v[26:27], v[22:23]
	s_delay_alu instid0(VALU_DEP_1) | instskip(SKIP_1) | instid1(VALU_DEP_2)
	v_mul_f64 v[30:31], v[28:29], s[2:3]
	v_add_f64 v[26:27], v[28:29], -v[26:27]
	v_fma_f64 v[32:33], v[28:29], s[2:3], -v[30:31]
	s_delay_alu instid0(VALU_DEP_2) | instskip(NEXT) | instid1(VALU_DEP_2)
	v_add_f64 v[22:23], v[22:23], -v[26:27]
	v_fma_f64 v[26:27], v[28:29], s[10:11], v[32:33]
	s_delay_alu instid0(VALU_DEP_1) | instskip(NEXT) | instid1(VALU_DEP_1)
	v_fma_f64 v[26:27], v[22:23], s[2:3], v[26:27]
	v_add_f64 v[22:23], v[30:31], v[26:27]
	s_delay_alu instid0(VALU_DEP_1) | instskip(NEXT) | instid1(VALU_DEP_1)
	v_add_f64 v[28:29], v[22:23], -v[30:31]
	v_add_f64 v[26:27], v[26:27], -v[28:29]
	s_cbranch_execz .LBB1_13
	s_branch .LBB1_14
.LBB1_12:
                                        ; implicit-def: $vgpr35
                                        ; implicit-def: $vgpr22_vgpr23
                                        ; implicit-def: $vgpr26_vgpr27
.LBB1_13:
	s_mov_b32 s2, 0x6dc9c883
	s_mov_b32 s3, 0x3fe45f30
	;; [unrolled: 1-line block ×3, first 2 shown]
	v_mul_f64 v[22:23], |s[6:7]|, s[2:3]
	s_mov_b32 s2, 0x54442d18
	s_mov_b32 s3, 0xbff921fb
	;; [unrolled: 1-line block ×3, first 2 shown]
	s_delay_alu instid0(VALU_DEP_1) | instskip(NEXT) | instid1(VALU_DEP_1)
	v_rndne_f64_e32 v[28:29], v[22:23]
	v_fma_f64 v[22:23], v[28:29], s[2:3], |s[6:7]|
	v_mul_f64 v[26:27], v[28:29], s[4:5]
	s_mov_b32 s2, 0x252049c0
	s_mov_b32 s3, 0xb97b839a
	v_cvt_i32_f64_e32 v35, v[28:29]
	s_delay_alu instid0(VALU_DEP_3) | instskip(NEXT) | instid1(VALU_DEP_3)
	v_fma_f64 v[32:33], v[28:29], s[4:5], v[22:23]
	v_add_f64 v[30:31], v[22:23], v[26:27]
	s_mov_b32 s5, 0x3c91a626
	s_delay_alu instid0(VALU_DEP_1) | instskip(NEXT) | instid1(VALU_DEP_3)
	v_add_f64 v[22:23], v[22:23], -v[30:31]
	v_add_f64 v[30:31], v[30:31], -v[32:33]
	s_delay_alu instid0(VALU_DEP_2) | instskip(SKIP_1) | instid1(VALU_DEP_2)
	v_add_f64 v[22:23], v[22:23], v[26:27]
	v_fma_f64 v[26:27], v[28:29], s[4:5], v[26:27]
	v_add_f64 v[22:23], v[30:31], v[22:23]
	s_delay_alu instid0(VALU_DEP_1) | instskip(NEXT) | instid1(VALU_DEP_1)
	v_add_f64 v[22:23], v[22:23], -v[26:27]
	v_fma_f64 v[26:27], v[28:29], s[2:3], v[22:23]
	s_delay_alu instid0(VALU_DEP_1) | instskip(NEXT) | instid1(VALU_DEP_1)
	v_add_f64 v[22:23], v[32:33], v[26:27]
	v_add_f64 v[30:31], v[22:23], -v[32:33]
	s_delay_alu instid0(VALU_DEP_1)
	v_add_f64 v[26:27], v[26:27], -v[30:31]
.LBB1_14:
	s_and_b32 vcc_lo, exec_lo, s24
	s_cbranch_vccz .LBB1_16
; %bb.15:
	v_cmp_le_f64_e64 vcc_lo, 0x7b000000, |s[6:7]|
	s_and_b32 s2, s7, 0x7fffffff
	s_mov_b32 s4, 0
	s_mov_b32 s10, 0x33145c07
	;; [unrolled: 1-line block ×3, first 2 shown]
	v_cndmask_b32_e32 v29, s2, v13, vcc_lo
	v_cndmask_b32_e32 v28, s6, v12, vcc_lo
	s_delay_alu instid0(VALU_DEP_1) | instskip(SKIP_2) | instid1(VALU_DEP_3)
	v_mul_f64 v[30:31], v[10:11], v[28:29]
	v_mul_f64 v[32:33], v[8:9], v[28:29]
	;; [unrolled: 1-line block ×3, first 2 shown]
	v_fma_f64 v[36:37], v[10:11], v[28:29], -v[30:31]
	s_delay_alu instid0(VALU_DEP_3) | instskip(NEXT) | instid1(VALU_DEP_3)
	v_fma_f64 v[48:49], v[8:9], v[28:29], -v[32:33]
	v_fma_f64 v[28:29], v[6:7], v[28:29], -v[46:47]
	s_delay_alu instid0(VALU_DEP_3) | instskip(NEXT) | instid1(VALU_DEP_1)
	v_add_f64 v[38:39], v[32:33], v[36:37]
	v_add_f64 v[40:41], v[38:39], -v[32:33]
	v_add_f64 v[44:45], v[30:31], v[38:39]
	s_delay_alu instid0(VALU_DEP_2) | instskip(SKIP_1) | instid1(VALU_DEP_3)
	v_add_f64 v[42:43], v[38:39], -v[40:41]
	v_add_f64 v[36:37], v[36:37], -v[40:41]
	v_ldexp_f64 v[40:41], v[44:45], -2
	v_add_f64 v[30:31], v[44:45], -v[30:31]
	s_delay_alu instid0(VALU_DEP_4) | instskip(SKIP_1) | instid1(VALU_DEP_4)
	v_add_f64 v[32:33], v[32:33], -v[42:43]
	v_add_f64 v[42:43], v[46:47], v[48:49]
	v_cmp_neq_f64_e64 vcc_lo, 0x7ff00000, |v[40:41]|
	s_delay_alu instid0(VALU_DEP_4) | instskip(NEXT) | instid1(VALU_DEP_4)
	v_add_f64 v[30:31], v[38:39], -v[30:31]
	v_add_f64 v[32:33], v[36:37], v[32:33]
	v_fract_f64_e32 v[36:37], v[40:41]
	s_delay_alu instid0(VALU_DEP_2) | instskip(NEXT) | instid1(VALU_DEP_2)
	v_add_f64 v[38:39], v[42:43], v[32:33]
	v_dual_cndmask_b32 v37, 0, v37 :: v_dual_cndmask_b32 v36, 0, v36
	s_delay_alu instid0(VALU_DEP_1) | instskip(NEXT) | instid1(VALU_DEP_3)
	v_ldexp_f64 v[36:37], v[36:37], 2
	v_add_f64 v[40:41], v[30:31], v[38:39]
	v_add_f64 v[50:51], v[38:39], -v[42:43]
	s_delay_alu instid0(VALU_DEP_2) | instskip(NEXT) | instid1(VALU_DEP_2)
	v_add_f64 v[44:45], v[40:41], v[36:37]
	v_add_f64 v[56:57], v[38:39], -v[50:51]
	v_add_f64 v[32:33], v[32:33], -v[50:51]
	;; [unrolled: 1-line block ×3, first 2 shown]
	s_delay_alu instid0(VALU_DEP_4) | instskip(SKIP_1) | instid1(VALU_DEP_3)
	v_cmp_gt_f64_e32 vcc_lo, 0, v[44:45]
	v_add_f64 v[44:45], v[42:43], -v[46:47]
	v_add_f64 v[30:31], v[38:39], -v[30:31]
	s_and_b32 s2, vcc_lo, exec_lo
	s_cselect_b32 s5, 0x40100000, 0
	s_delay_alu instid0(VALU_DEP_2) | instskip(SKIP_3) | instid1(VALU_DEP_4)
	v_add_f64 v[54:55], v[42:43], -v[44:45]
	v_add_f64 v[36:37], v[36:37], s[4:5]
	v_add_f64 v[44:45], v[48:49], -v[44:45]
	v_add_f64 v[42:43], v[42:43], -v[56:57]
	;; [unrolled: 1-line block ×3, first 2 shown]
	s_delay_alu instid0(VALU_DEP_4) | instskip(NEXT) | instid1(VALU_DEP_3)
	v_add_f64 v[52:53], v[40:41], v[36:37]
	v_add_f64 v[32:33], v[32:33], v[42:43]
	s_delay_alu instid0(VALU_DEP_3) | instskip(NEXT) | instid1(VALU_DEP_3)
	v_add_f64 v[44:45], v[44:45], v[48:49]
	v_cvt_i32_f64_e32 v34, v[52:53]
	s_delay_alu instid0(VALU_DEP_2) | instskip(NEXT) | instid1(VALU_DEP_2)
	v_add_f64 v[32:33], v[44:45], v[32:33]
	v_cvt_f64_i32_e32 v[50:51], v34
	s_delay_alu instid0(VALU_DEP_2) | instskip(NEXT) | instid1(VALU_DEP_2)
	v_add_f64 v[28:29], v[28:29], v[32:33]
	v_add_f64 v[36:37], v[36:37], -v[50:51]
	s_delay_alu instid0(VALU_DEP_2) | instskip(NEXT) | instid1(VALU_DEP_2)
	v_add_f64 v[28:29], v[30:31], v[28:29]
	v_add_f64 v[42:43], v[40:41], v[36:37]
	s_delay_alu instid0(VALU_DEP_1) | instskip(SKIP_1) | instid1(VALU_DEP_2)
	v_add_f64 v[32:33], v[42:43], -v[36:37]
	v_cmp_le_f64_e32 vcc_lo, 0.5, v[42:43]
	v_add_f64 v[30:31], v[40:41], -v[32:33]
	s_and_b32 s2, vcc_lo, exec_lo
	s_cselect_b32 s5, 0x3ff00000, 0
	v_add_co_ci_u32_e64 v36, s2, 0, v34, vcc_lo
	s_mov_b32 s2, 0x54442d18
	s_mov_b32 s3, 0x3ff921fb
	s_delay_alu instid0(VALU_DEP_2) | instskip(SKIP_1) | instid1(VALU_DEP_1)
	v_add_f64 v[28:29], v[28:29], v[30:31]
	v_add_f64 v[30:31], v[42:43], -s[4:5]
	v_add_f64 v[32:33], v[30:31], v[28:29]
	s_delay_alu instid0(VALU_DEP_1) | instskip(SKIP_1) | instid1(VALU_DEP_2)
	v_mul_f64 v[37:38], v[32:33], s[2:3]
	v_add_f64 v[30:31], v[32:33], -v[30:31]
	v_fma_f64 v[39:40], v[32:33], s[2:3], -v[37:38]
	s_delay_alu instid0(VALU_DEP_2) | instskip(NEXT) | instid1(VALU_DEP_2)
	v_add_f64 v[28:29], v[28:29], -v[30:31]
	v_fma_f64 v[30:31], v[32:33], s[10:11], v[39:40]
	s_delay_alu instid0(VALU_DEP_1) | instskip(NEXT) | instid1(VALU_DEP_1)
	v_fma_f64 v[31:32], v[28:29], s[2:3], v[30:31]
	v_add_f64 v[29:30], v[37:38], v[31:32]
	s_delay_alu instid0(VALU_DEP_1) | instskip(NEXT) | instid1(VALU_DEP_1)
	v_add_f64 v[33:34], v[29:30], -v[37:38]
	v_add_f64 v[31:32], v[31:32], -v[33:34]
	s_cbranch_execz .LBB1_17
	s_branch .LBB1_18
.LBB1_16:
                                        ; implicit-def: $vgpr36
                                        ; implicit-def: $vgpr29_vgpr30
                                        ; implicit-def: $vgpr31_vgpr32
.LBB1_17:
	s_mov_b32 s2, 0x6dc9c883
	s_mov_b32 s3, 0x3fe45f30
	;; [unrolled: 1-line block ×3, first 2 shown]
	v_mul_f64 v[28:29], |s[6:7]|, s[2:3]
	s_mov_b32 s2, 0x54442d18
	s_mov_b32 s3, 0xbff921fb
	;; [unrolled: 1-line block ×3, first 2 shown]
	s_delay_alu instid0(VALU_DEP_1) | instskip(NEXT) | instid1(VALU_DEP_1)
	v_rndne_f64_e32 v[33:34], v[28:29]
	v_fma_f64 v[28:29], v[33:34], s[2:3], |s[6:7]|
	v_mul_f64 v[30:31], v[33:34], s[4:5]
	s_mov_b32 s2, 0x252049c0
	s_mov_b32 s3, 0xb97b839a
	s_delay_alu instid0(VALU_DEP_2) | instskip(NEXT) | instid1(VALU_DEP_2)
	v_fma_f64 v[38:39], v[33:34], s[4:5], v[28:29]
	v_add_f64 v[36:37], v[28:29], v[30:31]
	s_mov_b32 s5, 0x3c91a626
	s_delay_alu instid0(VALU_DEP_1) | instskip(NEXT) | instid1(VALU_DEP_3)
	v_add_f64 v[28:29], v[28:29], -v[36:37]
	v_add_f64 v[36:37], v[36:37], -v[38:39]
	s_delay_alu instid0(VALU_DEP_2) | instskip(SKIP_1) | instid1(VALU_DEP_2)
	v_add_f64 v[28:29], v[28:29], v[30:31]
	v_fma_f64 v[30:31], v[33:34], s[4:5], v[30:31]
	v_add_f64 v[28:29], v[36:37], v[28:29]
	s_delay_alu instid0(VALU_DEP_1) | instskip(NEXT) | instid1(VALU_DEP_1)
	v_add_f64 v[28:29], v[28:29], -v[30:31]
	v_fma_f64 v[31:32], v[33:34], s[2:3], v[28:29]
	s_delay_alu instid0(VALU_DEP_1) | instskip(NEXT) | instid1(VALU_DEP_1)
	v_add_f64 v[29:30], v[38:39], v[31:32]
	v_add_f64 v[36:37], v[29:30], -v[38:39]
	s_delay_alu instid0(VALU_DEP_1)
	v_add_f64 v[31:32], v[31:32], -v[36:37]
	v_cvt_i32_f64_e32 v36, v[33:34]
.LBB1_18:
	v_readlane_b32 s2, v184, 0
	v_readlane_b32 s3, v184, 1
	v_mul_f64 v[41:42], v[22:23], v[22:23]
	v_mul_f64 v[45:46], v[18:19], v[18:19]
	s_mov_b32 s4, 0xb42fdfa7
	s_mov_b32 s10, 0xf9a43bb8
	v_cvt_i32_f64_e32 v28, s[2:3]
	s_mov_b32 s5, 0xbe5ae600
	s_mov_b32 s11, 0x3de5e0b2
	v_mul_f64 v[53:54], v[14:15], v[14:15]
	s_mov_b32 s14, 0x9037ab78
	s_mov_b32 s18, 0x46cc5e42
	;; [unrolled: 1-line block ×10, first 2 shown]
	v_mul_f64 v[81:82], v[26:27], 0.5
	v_add_f64 v[3:4], v[3:4], 1.0
	v_cmp_class_f64_e64 s2, s[6:7], 0x1f8
	v_fma_f64 v[47:48], v[41:42], s[10:11], s[4:5]
	v_fma_f64 v[51:52], v[45:46], s[10:11], s[4:5]
	v_mul_f64 v[55:56], v[41:42], -0.5
	v_fma_f64 v[57:58], v[41:42], s[18:19], s[14:15]
	v_cvt_f64_i32_e32 v[33:34], v28
	v_fma_f64 v[63:64], v[45:46], s[18:19], s[14:15]
	v_mul_f64 v[65:66], v[45:46], -0.5
	v_fma_f64 v[61:62], v[53:54], s[10:11], s[4:5]
	v_mul_f64 v[73:74], v[53:54], -0.5
	v_fma_f64 v[75:76], v[53:54], s[18:19], s[14:15]
	v_mul_f64 v[83:84], v[22:23], -v[41:42]
	v_mul_f64 v[91:92], v[18:19], -v[45:46]
	;; [unrolled: 1-line block ×3, first 2 shown]
	v_fma_f64 v[47:48], v[41:42], v[47:48], s[12:13]
	v_add_f64 v[67:68], v[55:56], 1.0
	v_fma_f64 v[57:58], v[41:42], v[57:58], s[22:23]
	v_add_f64 v[37:38], v[33:34], 1.0
	v_fma_f64 v[33:34], s[8:9], s[8:9], 0x412e8480
	v_fma_f64 v[63:64], v[45:46], v[63:64], s[22:23]
	;; [unrolled: 1-line block ×3, first 2 shown]
	v_add_f64 v[79:80], v[65:66], 1.0
	v_add_f64 v[97:98], v[73:74], 1.0
	v_fma_f64 v[75:76], v[53:54], v[75:76], s[22:23]
	v_fma_f64 v[47:48], v[41:42], v[47:48], s[20:21]
	v_add_f64 v[85:86], -v[67:68], 1.0
	v_div_scale_f64 v[39:40], null, v[37:38], v[37:38], 0x40340000
	v_cmp_gt_f64_e64 s3, 0x10000000, v[33:34]
	v_div_scale_f64 v[89:90], vcc_lo, 0x40340000, v[37:38], 0x40340000
	v_fma_f64 v[61:62], v[53:54], v[61:62], s[20:21]
	v_add_f64 v[99:100], -v[79:80], 1.0
	v_add_f64 v[105:106], -v[97:98], 1.0
	v_add_f64 v[55:56], v[85:86], v[55:56]
	v_mul_f64 v[85:86], v[16:17], 0.5
	v_rcp_f64_e32 v[43:44], v[39:40]
	v_cndmask_b32_e64 v28, 0, 1, s3
	s_and_b32 s3, s3, exec_lo
	s_cselect_b32 s3, 0xffffff80, 0
	v_add_f64 v[65:66], v[99:100], v[65:66]
	s_delay_alu instid0(VALU_DEP_2) | instskip(SKIP_1) | instid1(VALU_DEP_2)
	v_lshlrev_b32_e32 v28, 8, v28
	v_add_f64 v[73:74], v[105:106], v[73:74]
	v_ldexp_f64 v[33:34], v[33:34], v28
	v_and_b32_e32 v28, 1, v35
	v_fma_f64 v[55:56], v[22:23], -v[26:27], v[55:56]
	s_delay_alu instid0(TRANS32_DEP_1) | instskip(NEXT) | instid1(VALU_DEP_4)
	v_fma_f64 v[49:50], -v[39:40], v[43:44], 1.0
	v_rsq_f64_e32 v[59:60], v[33:34]
	s_delay_alu instid0(VALU_DEP_1)
	v_fma_f64 v[43:44], v[43:44], v[49:50], v[43:44]
	v_fma_f64 v[49:50], v[45:46], v[51:52], s[12:13]
	v_mul_f64 v[51:52], v[29:30], v[29:30]
	s_waitcnt_depctr 0xfff
	v_mul_f64 v[69:70], v[33:34], v[59:60]
	v_mul_f64 v[59:60], v[59:60], 0.5
	v_fma_f64 v[71:72], -v[39:40], v[43:44], 1.0
	v_fma_f64 v[49:50], v[45:46], v[49:50], s[20:21]
	v_fma_f64 v[77:78], v[51:52], s[10:11], s[4:5]
	s_mov_b32 s4, 0x19f4ec90
	s_mov_b32 s10, 0x11110bb3
	;; [unrolled: 1-line block ×4, first 2 shown]
	v_fma_f64 v[57:58], v[41:42], v[57:58], s[4:5]
	v_fma_f64 v[47:48], v[41:42], v[47:48], s[10:11]
	v_mul_f64 v[93:94], v[51:52], -0.5
	v_fma_f64 v[95:96], v[51:52], s[18:19], s[14:15]
	v_fma_f64 v[63:64], v[45:46], v[63:64], s[4:5]
	;; [unrolled: 1-line block ×3, first 2 shown]
	v_fma_f64 v[87:88], -v[59:60], v[69:70], 0.5
	s_mov_b32 s14, 0x55555555
	s_mov_b32 s15, 0x3fa55555
	v_fma_f64 v[43:44], v[43:44], v[71:72], v[43:44]
	v_mul_f64 v[71:72], v[20:21], 0.5
	v_fma_f64 v[49:50], v[45:46], v[49:50], s[10:11]
	v_fma_f64 v[77:78], v[51:52], v[77:78], s[12:13]
	s_mov_b32 s12, 0x16c16967
	s_mov_b32 s13, 0xbf56c16c
	s_delay_alu instid0(SALU_CYCLE_1)
	v_fma_f64 v[57:58], v[41:42], v[57:58], s[12:13]
	v_fma_f64 v[47:48], v[83:84], v[47:48], v[81:82]
	v_add_f64 v[103:104], v[93:94], 1.0
	v_fma_f64 v[95:96], v[51:52], v[95:96], s[22:23]
	v_fma_f64 v[63:64], v[45:46], v[63:64], s[12:13]
	;; [unrolled: 1-line block ×4, first 2 shown]
	v_mul_f64 v[81:82], v[89:90], v[43:44]
	v_fma_f64 v[49:50], v[91:92], v[49:50], v[71:72]
	v_fma_f64 v[71:72], v[53:54], v[75:76], s[4:5]
	v_fma_f64 v[75:76], v[51:52], v[77:78], s[20:21]
	v_mul_f64 v[77:78], v[41:42], v[41:42]
	v_fma_f64 v[57:58], v[41:42], v[57:58], s[14:15]
	v_fma_f64 v[26:27], v[41:42], v[47:48], -v[26:27]
	v_fma_f64 v[41:42], v[59:60], v[87:88], v[59:60]
	v_mul_f64 v[59:60], v[31:32], 0.5
	v_mul_f64 v[87:88], v[45:46], v[45:46]
	v_add_f64 v[99:100], -v[103:104], 1.0
	v_fma_f64 v[47:48], -v[69:70], v[69:70], v[33:34]
	v_fma_f64 v[95:96], v[51:52], v[95:96], s[4:5]
	v_fma_f64 v[39:40], -v[39:40], v[81:82], v[89:90]
	v_mul_f64 v[89:90], v[29:30], -v[51:52]
	v_fma_f64 v[49:50], v[45:46], v[49:50], -v[20:21]
	v_fma_f64 v[71:72], v[53:54], v[71:72], s[12:13]
	v_fma_f64 v[75:76], v[51:52], v[75:76], s[10:11]
	;; [unrolled: 1-line block ×3, first 2 shown]
	v_fma_f64 v[20:21], v[18:19], -v[20:21], v[65:66]
	s_mov_b32 s11, 0xbfc55555
	s_mov_b32 s10, s14
	v_fma_f64 v[55:56], v[77:78], v[57:58], v[55:56]
	v_fma_f64 v[26:27], v[83:84], s[10:11], v[26:27]
	v_add_f64 v[63:64], v[99:100], v[93:94]
	v_fma_f64 v[47:48], v[47:48], v[41:42], v[69:70]
	v_fma_f64 v[57:58], v[51:52], v[95:96], s[12:13]
	v_fma_f64 v[69:70], v[14:15], -v[16:17], v[73:74]
	v_fma_f64 v[16:17], v[53:54], v[61:62], -v[16:17]
	v_div_fmas_f64 v[39:40], v[39:40], v[43:44], v[81:82]
	v_mul_f64 v[43:44], v[53:54], v[53:54]
	v_fma_f64 v[49:50], v[91:92], s[10:11], v[49:50]
	v_fma_f64 v[65:66], v[53:54], v[71:72], s[14:15]
	;; [unrolled: 1-line block ×3, first 2 shown]
	v_cmp_eq_u32_e32 vcc_lo, 0, v28
	v_fma_f64 v[20:21], v[87:88], v[45:46], v[20:21]
	v_add_f64 v[45:46], v[67:68], v[55:56]
	v_add_f64 v[22:23], v[22:23], -v[26:27]
	v_fma_f64 v[55:56], v[29:30], -v[31:32], v[63:64]
	v_fma_f64 v[26:27], -v[47:48], v[47:48], v[33:34]
	v_fma_f64 v[53:54], v[51:52], v[57:58], s[14:15]
	v_fma_f64 v[16:17], v[101:102], s[10:11], v[16:17]
	v_div_fixup_f64 v[37:38], v[39:40], v[37:38], 0x40340000
	v_mul_f64 v[39:40], v[51:52], v[51:52]
	v_add_f64 v[18:19], v[18:19], -v[49:50]
	v_fma_f64 v[43:44], v[43:44], v[65:66], v[69:70]
	v_fma_f64 v[31:32], v[51:52], v[59:60], -v[31:32]
	v_add_f64 v[20:21], v[79:80], v[20:21]
	v_cndmask_b32_e32 v22, v22, v45, vcc_lo
	v_fma_f64 v[41:42], v[26:27], v[41:42], v[47:48]
	v_add_f64 v[14:15], v[14:15], -v[16:17]
	v_fma_f64 v[27:28], v[37:38], v[3:4], 0xc0240000
	v_lshlrev_b32_e32 v3, 30, v5
	v_and_b32_e32 v5, 1, v5
	v_xor_b32_e32 v19, 0x80000000, v19
	v_fma_f64 v[31:32], v[89:90], s[10:11], v[31:32]
	s_mov_b32 s10, 0x9fea6a70
	v_and_b32_e32 v26, 0x80000000, v3
	v_cmp_eq_u32_e64 s4, 0, v5
	v_fma_f64 v[3:4], v[39:40], v[53:54], v[55:56]
	v_add_f64 v[39:40], v[97:98], v[43:44]
	s_mov_b32 s11, 0x3fa05985
	s_delay_alu instid0(VALU_DEP_3) | instskip(SKIP_3) | instid1(VALU_DEP_4)
	v_cndmask_b32_e64 v16, v19, v21, s4
	v_cndmask_b32_e64 v5, v18, v20, s4
	v_ldexp_f64 v[19:20], v[41:42], s3
	v_cmp_class_f64_e64 s3, v[33:34], 0x260
	v_xor_b32_e32 v18, v16, v26
	s_delay_alu instid0(VALU_DEP_4) | instskip(SKIP_4) | instid1(VALU_DEP_4)
	v_cndmask_b32_e64 v17, 0, v5, s2
	v_lshlrev_b32_e32 v5, 30, v0
	v_and_b32_e32 v0, 1, v0
	v_cndmask_b32_e64 v16, 0, v22, s2
	v_cndmask_b32_e64 v18, 0x7ff80000, v18, s2
	v_xor_b32_e32 v5, s7, v5
	s_delay_alu instid0(VALU_DEP_4) | instskip(NEXT) | instid1(VALU_DEP_2)
	v_cmp_eq_u32_e64 s4, 0, v0
	v_and_b32_e32 v0, 0x80000000, v5
	s_delay_alu instid0(VALU_DEP_4)
	v_mul_f64 v[17:18], v[27:28], v[17:18]
	v_add_f64 v[21:22], v[29:30], -v[31:32]
	v_add_f64 v[3:4], v[103:104], v[3:4]
	v_cndmask_b32_e64 v5, v39, v14, s4
	v_cndmask_b32_e64 v14, v40, v15, s4
	s_mov_b32 s4, 0x78a05eaf
	s_mov_b32 s5, 0xbf90a5a3
	s_delay_alu instid0(VALU_DEP_1)
	v_xor_b32_e32 v0, v14, v0
	v_cndmask_b32_e64 v14, 0, v5, s2
	v_cndmask_b32_e64 v20, v20, v34, s3
	;; [unrolled: 1-line block ×3, first 2 shown]
	v_and_b32_e32 v5, 1, v36
	v_cndmask_b32_e64 v15, 0x7ff80000, v0, s2
	v_add_f64 v[0:1], v[1:2], 1.0
	v_lshlrev_b32_e32 v2, 30, v36
	s_delay_alu instid0(VALU_DEP_4) | instskip(SKIP_1) | instid1(VALU_DEP_3)
	v_cmp_eq_u32_e64 s3, 0, v5
	v_xor_b32_e32 v5, 0x80000000, v23
	v_xor_b32_e32 v2, s7, v2
	s_delay_alu instid0(VALU_DEP_2) | instskip(NEXT) | instid1(VALU_DEP_2)
	v_cndmask_b32_e32 v5, v5, v46, vcc_lo
	v_and_b32_e32 v2, 0x80000000, v2
	v_fma_f64 v[33:34], v[19:20], v[14:15], -v[17:18]
	v_cndmask_b32_e64 v4, v4, v22, s3
	v_cndmask_b32_e64 v3, v3, v21, s3
	s_delay_alu instid0(VALU_DEP_2) | instskip(NEXT) | instid1(VALU_DEP_2)
	v_xor_b32_e32 v4, v4, v2
	v_cndmask_b32_e64 v2, 0, v3, s2
	s_delay_alu instid0(VALU_DEP_2) | instskip(SKIP_2) | instid1(VALU_DEP_3)
	v_cndmask_b32_e64 v3, 0x7ff80000, v4, s2
	v_lshlrev_b32_e32 v4, 30, v35
	v_fma_f64 v[29:30], v[37:38], v[0:1], 0xc0240000
	v_mul_f64 v[0:1], v[27:28], v[2:3]
	s_delay_alu instid0(VALU_DEP_3) | instskip(NEXT) | instid1(VALU_DEP_1)
	v_and_b32_e32 v4, 0x80000000, v4
	v_xor_b32_e32 v4, v5, v4
	s_delay_alu instid0(VALU_DEP_1) | instskip(SKIP_1) | instid1(VALU_DEP_2)
	v_cndmask_b32_e64 v17, 0x7ff80000, v4, s2
	v_mul_f64 v[2:3], v[33:34], v[33:34]
	v_fma_f64 v[4:5], 0x408f4000, v[16:17], v[0:1]
	s_delay_alu instid0(VALU_DEP_2) | instskip(NEXT) | instid1(VALU_DEP_1)
	v_fma_f64 v[0:1], v[29:30], v[29:30], v[2:3]
	v_fma_f64 v[2:3], v[4:5], v[4:5], v[0:1]
	v_add_f64 v[0:1], s[8:9], s[8:9]
	s_delay_alu instid0(VALU_DEP_2) | instskip(NEXT) | instid1(VALU_DEP_2)
	v_fma_f64 v[2:3], -s[8:9], s[8:9], v[2:3]
	v_mul_f64 v[14:15], v[0:1], v[4:5]
	s_delay_alu instid0(VALU_DEP_2) | instskip(NEXT) | instid1(VALU_DEP_1)
	v_mul_f64 v[16:17], v[2:3], v[2:3]
	v_fma_f64 v[14:15], v[14:15], v[14:15], v[16:17]
	s_delay_alu instid0(VALU_DEP_1) | instskip(SKIP_1) | instid1(VALU_DEP_1)
	v_cmp_gt_f64_e32 vcc_lo, 0x10000000, v[14:15]
	v_cndmask_b32_e64 v16, 0, 1, vcc_lo
	v_lshlrev_b32_e32 v16, 8, v16
	s_delay_alu instid0(VALU_DEP_1) | instskip(NEXT) | instid1(VALU_DEP_1)
	v_ldexp_f64 v[14:15], v[14:15], v16
	v_rsq_f64_e32 v[16:17], v[14:15]
	s_waitcnt_depctr 0xfff
	v_mul_f64 v[18:19], v[14:15], v[16:17]
	v_mul_f64 v[16:17], v[16:17], 0.5
	s_delay_alu instid0(VALU_DEP_1) | instskip(NEXT) | instid1(VALU_DEP_1)
	v_fma_f64 v[20:21], -v[16:17], v[18:19], 0.5
	v_fma_f64 v[18:19], v[18:19], v[20:21], v[18:19]
	v_fma_f64 v[16:17], v[16:17], v[20:21], v[16:17]
	s_delay_alu instid0(VALU_DEP_2) | instskip(NEXT) | instid1(VALU_DEP_1)
	v_fma_f64 v[20:21], -v[18:19], v[18:19], v[14:15]
	v_fma_f64 v[18:19], v[20:21], v[16:17], v[18:19]
	s_delay_alu instid0(VALU_DEP_1) | instskip(NEXT) | instid1(VALU_DEP_1)
	v_fma_f64 v[20:21], -v[18:19], v[18:19], v[14:15]
	v_fma_f64 v[16:17], v[20:21], v[16:17], v[18:19]
	v_cndmask_b32_e64 v18, 0, 0xffffff80, vcc_lo
	v_cmp_class_f64_e64 vcc_lo, v[14:15], 0x260
	s_delay_alu instid0(VALU_DEP_2) | instskip(NEXT) | instid1(VALU_DEP_1)
	v_ldexp_f64 v[16:17], v[16:17], v18
	v_dual_cndmask_b32 v15, v17, v15 :: v_dual_cndmask_b32 v14, v16, v14
	s_delay_alu instid0(VALU_DEP_1) | instskip(NEXT) | instid1(VALU_DEP_1)
	v_add_f64 v[2:3], v[2:3], v[14:15]
	v_mul_f64 v[2:3], v[2:3], 0.5
	s_delay_alu instid0(VALU_DEP_1) | instskip(SKIP_1) | instid1(VALU_DEP_1)
	v_cmp_gt_f64_e32 vcc_lo, 0x10000000, v[2:3]
	v_cndmask_b32_e64 v14, 0, 1, vcc_lo
	v_lshlrev_b32_e32 v14, 8, v14
	s_delay_alu instid0(VALU_DEP_1) | instskip(NEXT) | instid1(VALU_DEP_1)
	v_ldexp_f64 v[2:3], v[2:3], v14
	v_rsq_f64_e32 v[14:15], v[2:3]
	s_waitcnt_depctr 0xfff
	v_mul_f64 v[16:17], v[2:3], v[14:15]
	v_mul_f64 v[14:15], v[14:15], 0.5
	s_delay_alu instid0(VALU_DEP_1) | instskip(NEXT) | instid1(VALU_DEP_1)
	v_fma_f64 v[18:19], -v[14:15], v[16:17], 0.5
	v_fma_f64 v[16:17], v[16:17], v[18:19], v[16:17]
	v_fma_f64 v[14:15], v[14:15], v[18:19], v[14:15]
	s_delay_alu instid0(VALU_DEP_2) | instskip(NEXT) | instid1(VALU_DEP_1)
	v_fma_f64 v[18:19], -v[16:17], v[16:17], v[2:3]
	v_fma_f64 v[16:17], v[18:19], v[14:15], v[16:17]
	s_delay_alu instid0(VALU_DEP_1) | instskip(NEXT) | instid1(VALU_DEP_1)
	v_fma_f64 v[18:19], -v[16:17], v[16:17], v[2:3]
	v_fma_f64 v[14:15], v[18:19], v[14:15], v[16:17]
	v_cndmask_b32_e64 v16, 0, 0xffffff80, vcc_lo
	v_cmp_class_f64_e64 vcc_lo, v[2:3], 0x260
	s_delay_alu instid0(VALU_DEP_2) | instskip(NEXT) | instid1(VALU_DEP_1)
	v_ldexp_f64 v[14:15], v[14:15], v16
	v_dual_cndmask_b32 v3, v15, v3 :: v_dual_cndmask_b32 v2, v14, v2
	s_delay_alu instid0(VALU_DEP_1) | instskip(SKIP_1) | instid1(VALU_DEP_2)
	v_div_scale_f64 v[14:15], null, v[2:3], v[2:3], v[4:5]
	v_div_scale_f64 v[20:21], vcc_lo, v[4:5], v[2:3], v[4:5]
	v_rcp_f64_e32 v[16:17], v[14:15]
	s_waitcnt_depctr 0xfff
	v_fma_f64 v[18:19], -v[14:15], v[16:17], 1.0
	s_delay_alu instid0(VALU_DEP_1) | instskip(NEXT) | instid1(VALU_DEP_1)
	v_fma_f64 v[16:17], v[16:17], v[18:19], v[16:17]
	v_fma_f64 v[18:19], -v[14:15], v[16:17], 1.0
	s_delay_alu instid0(VALU_DEP_1) | instskip(NEXT) | instid1(VALU_DEP_1)
	v_fma_f64 v[16:17], v[16:17], v[18:19], v[16:17]
	v_mul_f64 v[18:19], v[20:21], v[16:17]
	s_delay_alu instid0(VALU_DEP_1) | instskip(NEXT) | instid1(VALU_DEP_1)
	v_fma_f64 v[14:15], -v[14:15], v[18:19], v[20:21]
	v_div_fmas_f64 v[14:15], v[14:15], v[16:17], v[18:19]
	s_delay_alu instid0(VALU_DEP_1) | instskip(NEXT) | instid1(VALU_DEP_1)
	v_div_fixup_f64 v[14:15], v[14:15], v[2:3], v[4:5]
	v_fma_f64 v[16:17], |v[14:15]|, -0.5, 0.5
	v_mul_f64 v[4:5], v[14:15], v[14:15]
	v_cmp_ge_f64_e64 vcc_lo, |v[14:15]|, 0.5
	s_delay_alu instid0(VALU_DEP_2) | instskip(NEXT) | instid1(VALU_DEP_1)
	v_dual_cndmask_b32 v5, v5, v17 :: v_dual_cndmask_b32 v4, v4, v16
	v_fma_f64 v[18:19], v[4:5], s[10:11], s[4:5]
	s_mov_b32 s4, 0x37024d6a
	s_mov_b32 s5, 0x3f940521
	;; [unrolled: 1-line block ×4, first 2 shown]
	s_delay_alu instid0(VALU_DEP_1)
	v_fma_f64 v[18:19], v[4:5], v[18:19], s[4:5]
	s_mov_b32 s4, 0x98a70509
	s_mov_b32 s5, 0x3f7ab3a0
	s_delay_alu instid0(VALU_DEP_1) | instid1(SALU_CYCLE_1)
	v_fma_f64 v[18:19], v[4:5], v[18:19], s[4:5]
	s_mov_b32 s4, 0xa300c8d2
	s_mov_b32 s5, 0x3f88ed60
	s_delay_alu instid0(VALU_DEP_1) | instid1(SALU_CYCLE_1)
	;; [unrolled: 4-line block ×9, first 2 shown]
	v_fma_f64 v[18:19], v[4:5], v[18:19], s[4:5]
	s_mov_b32 s4, 0xeeb562d6
	s_mov_b32 s5, 0x3ffaf154
	s_delay_alu instid0(VALU_DEP_1) | instskip(NEXT) | instid1(VALU_DEP_1)
	v_mul_f64 v[18:19], v[4:5], v[18:19]
	v_fma_f64 v[4:5], v[14:15], v[18:19], v[14:15]
	s_delay_alu instid0(VALU_DEP_1)
	v_fma_f64 v[4:5], s[10:11], s[4:5], -v[4:5]
	s_and_saveexec_b32 s3, vcc_lo
	s_cbranch_execz .LBB1_20
; %bb.19:
	v_rsq_f64_e32 v[4:5], v[16:17]
	v_cmp_eq_f64_e32 vcc_lo, 0, v[16:17]
	s_mov_b32 s11, 0x3ffdd9ad
	s_waitcnt_depctr 0xfff
	v_mul_f64 v[20:21], v[16:17], v[4:5]
	v_mul_f64 v[4:5], v[4:5], 0.5
	s_delay_alu instid0(VALU_DEP_1) | instskip(NEXT) | instid1(VALU_DEP_1)
	v_fma_f64 v[22:23], -v[4:5], v[20:21], 0.5
	v_fma_f64 v[20:21], v[20:21], v[22:23], v[20:21]
	v_fma_f64 v[4:5], v[4:5], v[22:23], v[4:5]
	s_delay_alu instid0(VALU_DEP_2) | instskip(NEXT) | instid1(VALU_DEP_1)
	v_fma_f64 v[22:23], -v[20:21], v[20:21], v[16:17]
	v_fma_f64 v[4:5], v[22:23], v[4:5], v[20:21]
	s_delay_alu instid0(VALU_DEP_1) | instskip(NEXT) | instid1(VALU_DEP_1)
	v_dual_cndmask_b32 v5, v5, v17 :: v_dual_cndmask_b32 v4, v4, v16
	v_add_f64 v[20:21], v[4:5], v[4:5]
	v_mul_f64 v[22:23], v[4:5], v[4:5]
	s_delay_alu instid0(VALU_DEP_2) | instskip(NEXT) | instid1(VALU_DEP_1)
	v_rcp_f64_e32 v[31:32], v[20:21]
	v_add_f64 v[35:36], v[16:17], -v[22:23]
	v_fma_f64 v[39:40], v[4:5], v[4:5], -v[22:23]
	s_delay_alu instid0(VALU_DEP_2) | instskip(SKIP_3) | instid1(VALU_DEP_2)
	v_add_f64 v[16:17], v[16:17], -v[35:36]
	s_waitcnt_depctr 0xfff
	v_fma_f64 v[37:38], -v[20:21], v[31:32], 1.0
	v_add_f64 v[16:17], v[16:17], -v[22:23]
	v_fma_f64 v[22:23], v[37:38], v[31:32], v[31:32]
	s_delay_alu instid0(VALU_DEP_2) | instskip(NEXT) | instid1(VALU_DEP_2)
	v_add_f64 v[16:17], v[16:17], -v[39:40]
	v_fma_f64 v[31:32], -v[20:21], v[22:23], 1.0
	s_delay_alu instid0(VALU_DEP_2) | instskip(NEXT) | instid1(VALU_DEP_2)
	v_add_f64 v[16:17], v[35:36], v[16:17]
	v_fma_f64 v[22:23], v[31:32], v[22:23], v[22:23]
	s_delay_alu instid0(VALU_DEP_1) | instskip(NEXT) | instid1(VALU_DEP_1)
	v_mul_f64 v[31:32], v[16:17], v[22:23]
	v_fma_f64 v[16:17], -v[20:21], v[31:32], v[16:17]
	s_delay_alu instid0(VALU_DEP_1) | instskip(NEXT) | instid1(VALU_DEP_1)
	v_fma_f64 v[16:17], v[16:17], v[22:23], v[31:32]
	v_cndmask_b32_e64 v17, v17, 0, vcc_lo
	s_delay_alu instid0(VALU_DEP_2) | instskip(SKIP_1) | instid1(VALU_DEP_2)
	v_cndmask_b32_e64 v16, v16, 0, vcc_lo
	v_cmp_gt_f64_e32 vcc_lo, 0, v[14:15]
	v_add_f64 v[20:21], v[4:5], v[16:17]
	s_delay_alu instid0(VALU_DEP_1) | instskip(NEXT) | instid1(VALU_DEP_1)
	v_add_f64 v[4:5], v[20:21], -v[4:5]
	v_add_f64 v[4:5], v[16:17], -v[4:5]
	v_fma_f64 v[16:17], v[20:21], v[18:19], v[20:21]
	s_delay_alu instid0(VALU_DEP_2) | instskip(NEXT) | instid1(VALU_DEP_2)
	v_fma_f64 v[4:5], v[20:21], v[18:19], v[4:5]
	v_mul_f64 v[16:17], v[16:17], -2.0
	s_delay_alu instid0(VALU_DEP_2) | instskip(NEXT) | instid1(VALU_DEP_2)
	v_add_f64 v[4:5], v[20:21], v[4:5]
	v_fma_f64 v[16:17], s[10:11], s[4:5], v[16:17]
	s_delay_alu instid0(VALU_DEP_2) | instskip(NEXT) | instid1(VALU_DEP_1)
	v_add_f64 v[4:5], v[4:5], v[4:5]
	v_dual_cndmask_b32 v5, v5, v17 :: v_dual_cndmask_b32 v4, v4, v16
	v_cmp_neq_f64_e32 vcc_lo, -1.0, v[14:15]
	s_delay_alu instid0(VALU_DEP_2) | instskip(NEXT) | instid1(VALU_DEP_3)
	v_cndmask_b32_e32 v4, 0x54442d18, v4, vcc_lo
	v_cndmask_b32_e32 v5, 0x400921fb, v5, vcc_lo
	v_cmp_neq_f64_e32 vcc_lo, 1.0, v[14:15]
	s_delay_alu instid0(VALU_DEP_2)
	v_dual_cndmask_b32 v5, 0, v5 :: v_dual_cndmask_b32 v4, 0, v4
.LBB1_20:
	s_or_b32 exec_lo, exec_lo, s3
	s_delay_alu instid0(VALU_DEP_1)
	v_cmp_ngt_f64_e64 s12, 0x41d00000, |v[4:5]|
	v_trig_preop_f64 v[53:54], |v[4:5]|, 0
	v_trig_preop_f64 v[51:52], |v[4:5]|, 1
	v_ldexp_f64 v[55:56], |v[4:5]|, 0xffffff80
	v_trig_preop_f64 v[45:46], |v[4:5]|, 2
	v_and_b32_e32 v89, 0x7fffffff, v5
                                        ; implicit-def: $vgpr26
                                        ; implicit-def: $vgpr14_vgpr15
                                        ; implicit-def: $vgpr16_vgpr17
	s_and_saveexec_b32 s3, s12
	s_delay_alu instid0(SALU_CYCLE_1)
	s_xor_b32 s4, exec_lo, s3
	s_cbranch_execz .LBB1_22
; %bb.21:
	v_cmp_le_f64_e64 vcc_lo, 0x7b000000, |v[4:5]|
	v_mov_b32_e32 v43, 0
	s_mov_b32 s10, 0x54442d18
	s_mov_b32 s11, 0x3ff921fb
	;; [unrolled: 1-line block ×4, first 2 shown]
	v_dual_cndmask_b32 v15, v89, v56 :: v_dual_cndmask_b32 v14, v4, v55
	s_delay_alu instid0(VALU_DEP_1) | instskip(SKIP_2) | instid1(VALU_DEP_3)
	v_mul_f64 v[16:17], v[53:54], v[14:15]
	v_mul_f64 v[18:19], v[51:52], v[14:15]
	;; [unrolled: 1-line block ×3, first 2 shown]
	v_fma_f64 v[20:21], v[53:54], v[14:15], -v[16:17]
	s_delay_alu instid0(VALU_DEP_3) | instskip(NEXT) | instid1(VALU_DEP_3)
	v_fma_f64 v[41:42], v[51:52], v[14:15], -v[18:19]
	v_fma_f64 v[14:15], v[45:46], v[14:15], -v[39:40]
	s_delay_alu instid0(VALU_DEP_3) | instskip(NEXT) | instid1(VALU_DEP_1)
	v_add_f64 v[22:23], v[18:19], v[20:21]
	v_add_f64 v[31:32], v[22:23], -v[18:19]
	v_add_f64 v[37:38], v[16:17], v[22:23]
	s_delay_alu instid0(VALU_DEP_2) | instskip(SKIP_1) | instid1(VALU_DEP_3)
	v_add_f64 v[35:36], v[22:23], -v[31:32]
	v_add_f64 v[20:21], v[20:21], -v[31:32]
	v_ldexp_f64 v[31:32], v[37:38], -2
	v_add_f64 v[16:17], v[37:38], -v[16:17]
	s_delay_alu instid0(VALU_DEP_4) | instskip(SKIP_1) | instid1(VALU_DEP_4)
	v_add_f64 v[18:19], v[18:19], -v[35:36]
	v_add_f64 v[35:36], v[39:40], v[41:42]
	v_cmp_neq_f64_e64 vcc_lo, 0x7ff00000, |v[31:32]|
	s_delay_alu instid0(VALU_DEP_4) | instskip(NEXT) | instid1(VALU_DEP_4)
	v_add_f64 v[16:17], v[22:23], -v[16:17]
	v_add_f64 v[18:19], v[20:21], v[18:19]
	v_fract_f64_e32 v[20:21], v[31:32]
	s_delay_alu instid0(VALU_DEP_2) | instskip(NEXT) | instid1(VALU_DEP_2)
	v_add_f64 v[22:23], v[35:36], v[18:19]
	v_dual_cndmask_b32 v21, 0, v21 :: v_dual_cndmask_b32 v20, 0, v20
	s_delay_alu instid0(VALU_DEP_1) | instskip(NEXT) | instid1(VALU_DEP_3)
	v_ldexp_f64 v[20:21], v[20:21], 2
	v_add_f64 v[31:32], v[16:17], v[22:23]
	v_add_f64 v[47:48], v[22:23], -v[35:36]
	s_delay_alu instid0(VALU_DEP_2) | instskip(NEXT) | instid1(VALU_DEP_2)
	v_add_f64 v[37:38], v[31:32], v[20:21]
	v_add_f64 v[59:60], v[22:23], -v[47:48]
	v_add_f64 v[18:19], v[18:19], -v[47:48]
	;; [unrolled: 1-line block ×3, first 2 shown]
	s_delay_alu instid0(VALU_DEP_4) | instskip(SKIP_1) | instid1(VALU_DEP_3)
	v_cmp_gt_f64_e32 vcc_lo, 0, v[37:38]
	v_add_f64 v[37:38], v[35:36], -v[39:40]
	v_add_f64 v[16:17], v[22:23], -v[16:17]
	v_cndmask_b32_e64 v44, 0, 0x40100000, vcc_lo
	s_delay_alu instid0(VALU_DEP_3) | instskip(SKIP_2) | instid1(VALU_DEP_4)
	v_add_f64 v[57:58], v[35:36], -v[37:38]
	v_add_f64 v[37:38], v[41:42], -v[37:38]
	;; [unrolled: 1-line block ×3, first 2 shown]
	v_add_f64 v[20:21], v[20:21], v[43:44]
	s_delay_alu instid0(VALU_DEP_4) | instskip(NEXT) | instid1(VALU_DEP_3)
	v_add_f64 v[41:42], v[39:40], -v[57:58]
	v_add_f64 v[18:19], v[18:19], v[35:36]
	s_delay_alu instid0(VALU_DEP_3) | instskip(NEXT) | instid1(VALU_DEP_3)
	v_add_f64 v[49:50], v[31:32], v[20:21]
	v_add_f64 v[37:38], v[37:38], v[41:42]
	s_delay_alu instid0(VALU_DEP_2) | instskip(NEXT) | instid1(VALU_DEP_2)
	v_cvt_i32_f64_e32 v26, v[49:50]
	v_add_f64 v[18:19], v[37:38], v[18:19]
	s_delay_alu instid0(VALU_DEP_2) | instskip(NEXT) | instid1(VALU_DEP_2)
	v_cvt_f64_i32_e32 v[47:48], v26
	v_add_f64 v[14:15], v[14:15], v[18:19]
	s_delay_alu instid0(VALU_DEP_2) | instskip(NEXT) | instid1(VALU_DEP_2)
	v_add_f64 v[20:21], v[20:21], -v[47:48]
	v_add_f64 v[14:15], v[16:17], v[14:15]
	s_delay_alu instid0(VALU_DEP_2) | instskip(NEXT) | instid1(VALU_DEP_1)
	v_add_f64 v[35:36], v[31:32], v[20:21]
	v_add_f64 v[18:19], v[35:36], -v[20:21]
	v_cmp_le_f64_e32 vcc_lo, 0.5, v[35:36]
	s_delay_alu instid0(VALU_DEP_2) | instskip(SKIP_2) | instid1(VALU_DEP_3)
	v_add_f64 v[16:17], v[31:32], -v[18:19]
	v_cndmask_b32_e64 v44, 0, 0x3ff00000, vcc_lo
	v_add_co_ci_u32_e64 v26, s3, 0, v26, vcc_lo
	v_add_f64 v[14:15], v[14:15], v[16:17]
	s_delay_alu instid0(VALU_DEP_3) | instskip(NEXT) | instid1(VALU_DEP_1)
	v_add_f64 v[16:17], v[35:36], -v[43:44]
	v_add_f64 v[18:19], v[16:17], v[14:15]
	s_delay_alu instid0(VALU_DEP_1) | instskip(SKIP_1) | instid1(VALU_DEP_2)
	v_mul_f64 v[20:21], v[18:19], s[10:11]
	v_add_f64 v[16:17], v[18:19], -v[16:17]
	v_fma_f64 v[22:23], v[18:19], s[10:11], -v[20:21]
	s_delay_alu instid0(VALU_DEP_2) | instskip(NEXT) | instid1(VALU_DEP_2)
	v_add_f64 v[14:15], v[14:15], -v[16:17]
	v_fma_f64 v[16:17], v[18:19], s[14:15], v[22:23]
	s_delay_alu instid0(VALU_DEP_1) | instskip(NEXT) | instid1(VALU_DEP_1)
	v_fma_f64 v[16:17], v[14:15], s[10:11], v[16:17]
	v_add_f64 v[14:15], v[20:21], v[16:17]
	s_delay_alu instid0(VALU_DEP_1) | instskip(NEXT) | instid1(VALU_DEP_1)
	v_add_f64 v[18:19], v[14:15], -v[20:21]
	v_add_f64 v[16:17], v[16:17], -v[18:19]
	s_and_not1_saveexec_b32 s3, s4
	s_cbranch_execz .LBB1_24
	s_branch .LBB1_23
.LBB1_22:
	s_and_not1_saveexec_b32 s3, s4
	s_cbranch_execz .LBB1_24
.LBB1_23:
	s_mov_b32 s4, 0x6dc9c883
	s_mov_b32 s5, 0x3fe45f30
	;; [unrolled: 1-line block ×3, first 2 shown]
	v_mul_f64 v[14:15], |v[4:5]|, s[4:5]
	s_mov_b32 s4, 0x54442d18
	s_mov_b32 s5, 0xbff921fb
	;; [unrolled: 1-line block ×3, first 2 shown]
	s_delay_alu instid0(VALU_DEP_1) | instskip(NEXT) | instid1(VALU_DEP_1)
	v_rndne_f64_e32 v[18:19], v[14:15]
	v_fma_f64 v[14:15], v[18:19], s[4:5], |v[4:5]|
	v_mul_f64 v[16:17], v[18:19], s[10:11]
	s_mov_b32 s4, 0x252049c0
	s_mov_b32 s5, 0xb97b839a
	v_cvt_i32_f64_e32 v26, v[18:19]
	s_delay_alu instid0(VALU_DEP_3) | instskip(NEXT) | instid1(VALU_DEP_3)
	v_fma_f64 v[22:23], v[18:19], s[10:11], v[14:15]
	v_add_f64 v[20:21], v[14:15], v[16:17]
	s_mov_b32 s11, 0x3c91a626
	s_delay_alu instid0(VALU_DEP_1) | instskip(NEXT) | instid1(VALU_DEP_3)
	v_add_f64 v[14:15], v[14:15], -v[20:21]
	v_add_f64 v[20:21], v[20:21], -v[22:23]
	s_delay_alu instid0(VALU_DEP_2) | instskip(SKIP_1) | instid1(VALU_DEP_2)
	v_add_f64 v[14:15], v[14:15], v[16:17]
	v_fma_f64 v[16:17], v[18:19], s[10:11], v[16:17]
	v_add_f64 v[14:15], v[20:21], v[14:15]
	s_delay_alu instid0(VALU_DEP_1) | instskip(NEXT) | instid1(VALU_DEP_1)
	v_add_f64 v[14:15], v[14:15], -v[16:17]
	v_fma_f64 v[16:17], v[18:19], s[4:5], v[14:15]
	s_delay_alu instid0(VALU_DEP_1) | instskip(NEXT) | instid1(VALU_DEP_1)
	v_add_f64 v[14:15], v[22:23], v[16:17]
	v_add_f64 v[20:21], v[14:15], -v[22:23]
	s_delay_alu instid0(VALU_DEP_1)
	v_add_f64 v[16:17], v[16:17], -v[20:21]
.LBB1_24:
	s_or_b32 exec_lo, exec_lo, s3
                                        ; implicit-def: $vgpr83
                                        ; implicit-def: $vgpr18_vgpr19
                                        ; implicit-def: $vgpr20_vgpr21
	s_and_saveexec_b32 s3, s12
	s_delay_alu instid0(SALU_CYCLE_1)
	s_xor_b32 s4, exec_lo, s3
	s_cbranch_execz .LBB1_28
; %bb.25:
	v_cmp_le_f64_e64 vcc_lo, 0x7b000000, |v[4:5]|
	v_mov_b32_e32 v49, 0
	s_mov_b32 s10, 0x54442d18
	s_mov_b32 s11, 0x3ff921fb
	;; [unrolled: 1-line block ×4, first 2 shown]
	v_dual_cndmask_b32 v19, v89, v56 :: v_dual_cndmask_b32 v18, v4, v55
	s_delay_alu instid0(VALU_DEP_1) | instskip(SKIP_2) | instid1(VALU_DEP_3)
	v_mul_f64 v[20:21], v[53:54], v[18:19]
	v_mul_f64 v[22:23], v[51:52], v[18:19]
	;; [unrolled: 1-line block ×3, first 2 shown]
	v_fma_f64 v[31:32], v[53:54], v[18:19], -v[20:21]
	s_delay_alu instid0(VALU_DEP_3) | instskip(NEXT) | instid1(VALU_DEP_3)
	v_fma_f64 v[47:48], v[51:52], v[18:19], -v[22:23]
	v_fma_f64 v[18:19], v[45:46], v[18:19], -v[43:44]
	s_delay_alu instid0(VALU_DEP_3) | instskip(NEXT) | instid1(VALU_DEP_1)
	v_add_f64 v[35:36], v[22:23], v[31:32]
	v_add_f64 v[37:38], v[35:36], -v[22:23]
	v_add_f64 v[41:42], v[20:21], v[35:36]
	s_delay_alu instid0(VALU_DEP_2) | instskip(SKIP_1) | instid1(VALU_DEP_3)
	v_add_f64 v[39:40], v[35:36], -v[37:38]
	v_add_f64 v[31:32], v[31:32], -v[37:38]
	v_ldexp_f64 v[37:38], v[41:42], -2
	v_add_f64 v[20:21], v[41:42], -v[20:21]
	s_delay_alu instid0(VALU_DEP_4) | instskip(SKIP_1) | instid1(VALU_DEP_4)
	v_add_f64 v[22:23], v[22:23], -v[39:40]
	v_add_f64 v[39:40], v[43:44], v[47:48]
	v_cmp_neq_f64_e64 vcc_lo, 0x7ff00000, |v[37:38]|
	s_delay_alu instid0(VALU_DEP_4) | instskip(NEXT) | instid1(VALU_DEP_4)
	v_add_f64 v[20:21], v[35:36], -v[20:21]
	v_add_f64 v[22:23], v[31:32], v[22:23]
	v_fract_f64_e32 v[31:32], v[37:38]
	s_delay_alu instid0(VALU_DEP_2) | instskip(NEXT) | instid1(VALU_DEP_2)
	v_add_f64 v[35:36], v[39:40], v[22:23]
	v_dual_cndmask_b32 v32, 0, v32 :: v_dual_cndmask_b32 v31, 0, v31
	s_delay_alu instid0(VALU_DEP_1) | instskip(NEXT) | instid1(VALU_DEP_3)
	v_ldexp_f64 v[31:32], v[31:32], 2
	v_add_f64 v[37:38], v[20:21], v[35:36]
	v_add_f64 v[57:58], v[35:36], -v[39:40]
	s_delay_alu instid0(VALU_DEP_2) | instskip(NEXT) | instid1(VALU_DEP_2)
	v_add_f64 v[41:42], v[37:38], v[31:32]
	v_add_f64 v[63:64], v[35:36], -v[57:58]
	v_add_f64 v[22:23], v[22:23], -v[57:58]
	;; [unrolled: 1-line block ×3, first 2 shown]
	s_delay_alu instid0(VALU_DEP_4) | instskip(SKIP_1) | instid1(VALU_DEP_3)
	v_cmp_gt_f64_e32 vcc_lo, 0, v[41:42]
	v_add_f64 v[41:42], v[39:40], -v[43:44]
	v_add_f64 v[20:21], v[35:36], -v[20:21]
	v_cndmask_b32_e64 v50, 0, 0x40100000, vcc_lo
	s_delay_alu instid0(VALU_DEP_3) | instskip(SKIP_2) | instid1(VALU_DEP_4)
	v_add_f64 v[61:62], v[39:40], -v[41:42]
	v_add_f64 v[41:42], v[47:48], -v[41:42]
	;; [unrolled: 1-line block ×3, first 2 shown]
	v_add_f64 v[31:32], v[31:32], v[49:50]
	s_delay_alu instid0(VALU_DEP_4) | instskip(NEXT) | instid1(VALU_DEP_3)
	v_add_f64 v[47:48], v[43:44], -v[61:62]
	v_add_f64 v[22:23], v[22:23], v[39:40]
	s_delay_alu instid0(VALU_DEP_3) | instskip(NEXT) | instid1(VALU_DEP_3)
	v_add_f64 v[59:60], v[37:38], v[31:32]
	v_add_f64 v[41:42], v[41:42], v[47:48]
	s_delay_alu instid0(VALU_DEP_2) | instskip(NEXT) | instid1(VALU_DEP_2)
	v_cvt_i32_f64_e32 v50, v[59:60]
	v_add_f64 v[22:23], v[41:42], v[22:23]
	s_delay_alu instid0(VALU_DEP_2) | instskip(NEXT) | instid1(VALU_DEP_2)
	v_cvt_f64_i32_e32 v[57:58], v50
	v_add_f64 v[18:19], v[18:19], v[22:23]
	s_delay_alu instid0(VALU_DEP_2) | instskip(NEXT) | instid1(VALU_DEP_2)
	v_add_f64 v[31:32], v[31:32], -v[57:58]
	v_add_f64 v[18:19], v[20:21], v[18:19]
	s_delay_alu instid0(VALU_DEP_2) | instskip(NEXT) | instid1(VALU_DEP_1)
	v_add_f64 v[39:40], v[37:38], v[31:32]
	v_add_f64 v[22:23], v[39:40], -v[31:32]
	v_cmp_le_f64_e32 vcc_lo, 0.5, v[39:40]
	s_delay_alu instid0(VALU_DEP_2) | instskip(SKIP_2) | instid1(VALU_DEP_3)
	v_add_f64 v[20:21], v[37:38], -v[22:23]
	v_add_co_ci_u32_e64 v83, s3, 0, v50, vcc_lo
	v_cndmask_b32_e64 v50, 0, 0x3ff00000, vcc_lo
	v_add_f64 v[18:19], v[18:19], v[20:21]
	s_delay_alu instid0(VALU_DEP_2) | instskip(NEXT) | instid1(VALU_DEP_1)
	v_add_f64 v[20:21], v[39:40], -v[49:50]
	v_add_f64 v[22:23], v[20:21], v[18:19]
	s_delay_alu instid0(VALU_DEP_1) | instskip(SKIP_1) | instid1(VALU_DEP_2)
	v_mul_f64 v[31:32], v[22:23], s[10:11]
	v_add_f64 v[20:21], v[22:23], -v[20:21]
	v_fma_f64 v[35:36], v[22:23], s[10:11], -v[31:32]
	s_delay_alu instid0(VALU_DEP_2) | instskip(NEXT) | instid1(VALU_DEP_2)
	v_add_f64 v[18:19], v[18:19], -v[20:21]
	v_fma_f64 v[20:21], v[22:23], s[14:15], v[35:36]
	s_delay_alu instid0(VALU_DEP_1) | instskip(NEXT) | instid1(VALU_DEP_1)
	v_fma_f64 v[20:21], v[18:19], s[10:11], v[20:21]
	v_add_f64 v[18:19], v[31:32], v[20:21]
	s_delay_alu instid0(VALU_DEP_1) | instskip(NEXT) | instid1(VALU_DEP_1)
	v_add_f64 v[22:23], v[18:19], -v[31:32]
	v_add_f64 v[20:21], v[20:21], -v[22:23]
	s_and_not1_saveexec_b32 s3, s4
	s_cbranch_execnz .LBB1_29
.LBB1_26:
	s_or_b32 exec_lo, exec_lo, s3
	s_delay_alu instid0(SALU_CYCLE_1)
	s_and_b32 vcc_lo, exec_lo, s24
	s_cbranch_vccz .LBB1_30
.LBB1_27:
	v_cmp_le_f64_e64 vcc_lo, 0x7b000000, |s[6:7]|
	s_and_b32 s3, s7, 0x7fffffff
	s_mov_b32 s4, 0
	s_mov_b32 s10, 0x54442d18
	;; [unrolled: 1-line block ×5, first 2 shown]
	v_cndmask_b32_e32 v23, s3, v13, vcc_lo
	v_cndmask_b32_e32 v22, s6, v12, vcc_lo
	s_delay_alu instid0(VALU_DEP_1) | instskip(SKIP_2) | instid1(VALU_DEP_3)
	v_mul_f64 v[31:32], v[10:11], v[22:23]
	v_mul_f64 v[35:36], v[8:9], v[22:23]
	;; [unrolled: 1-line block ×3, first 2 shown]
	v_fma_f64 v[37:38], v[10:11], v[22:23], -v[31:32]
	s_delay_alu instid0(VALU_DEP_3) | instskip(NEXT) | instid1(VALU_DEP_3)
	v_fma_f64 v[57:58], v[8:9], v[22:23], -v[35:36]
	v_fma_f64 v[22:23], v[6:7], v[22:23], -v[49:50]
	s_delay_alu instid0(VALU_DEP_3) | instskip(NEXT) | instid1(VALU_DEP_1)
	v_add_f64 v[39:40], v[35:36], v[37:38]
	v_add_f64 v[41:42], v[39:40], -v[35:36]
	v_add_f64 v[47:48], v[31:32], v[39:40]
	s_delay_alu instid0(VALU_DEP_2) | instskip(SKIP_1) | instid1(VALU_DEP_3)
	v_add_f64 v[43:44], v[39:40], -v[41:42]
	v_add_f64 v[37:38], v[37:38], -v[41:42]
	v_ldexp_f64 v[41:42], v[47:48], -2
	v_add_f64 v[31:32], v[47:48], -v[31:32]
	s_delay_alu instid0(VALU_DEP_4) | instskip(SKIP_1) | instid1(VALU_DEP_4)
	v_add_f64 v[35:36], v[35:36], -v[43:44]
	v_add_f64 v[43:44], v[49:50], v[57:58]
	v_cmp_neq_f64_e64 vcc_lo, 0x7ff00000, |v[41:42]|
	s_delay_alu instid0(VALU_DEP_4) | instskip(NEXT) | instid1(VALU_DEP_4)
	v_add_f64 v[31:32], v[39:40], -v[31:32]
	v_add_f64 v[35:36], v[37:38], v[35:36]
	v_fract_f64_e32 v[37:38], v[41:42]
	s_delay_alu instid0(VALU_DEP_2) | instskip(NEXT) | instid1(VALU_DEP_2)
	v_add_f64 v[39:40], v[43:44], v[35:36]
	v_dual_cndmask_b32 v38, 0, v38 :: v_dual_cndmask_b32 v37, 0, v37
	s_delay_alu instid0(VALU_DEP_1) | instskip(NEXT) | instid1(VALU_DEP_3)
	v_ldexp_f64 v[37:38], v[37:38], 2
	v_add_f64 v[41:42], v[31:32], v[39:40]
	v_add_f64 v[59:60], v[39:40], -v[43:44]
	s_delay_alu instid0(VALU_DEP_2) | instskip(NEXT) | instid1(VALU_DEP_2)
	v_add_f64 v[47:48], v[41:42], v[37:38]
	v_add_f64 v[65:66], v[39:40], -v[59:60]
	v_add_f64 v[35:36], v[35:36], -v[59:60]
	;; [unrolled: 1-line block ×3, first 2 shown]
	s_delay_alu instid0(VALU_DEP_4) | instskip(SKIP_1) | instid1(VALU_DEP_3)
	v_cmp_gt_f64_e32 vcc_lo, 0, v[47:48]
	v_add_f64 v[47:48], v[43:44], -v[49:50]
	v_add_f64 v[31:32], v[39:40], -v[31:32]
	s_and_b32 s3, vcc_lo, exec_lo
	s_cselect_b32 s5, 0x40100000, 0
	s_delay_alu instid0(VALU_DEP_2) | instskip(SKIP_3) | instid1(VALU_DEP_4)
	v_add_f64 v[63:64], v[43:44], -v[47:48]
	v_add_f64 v[37:38], v[37:38], s[4:5]
	v_add_f64 v[47:48], v[57:58], -v[47:48]
	v_add_f64 v[43:44], v[43:44], -v[65:66]
	;; [unrolled: 1-line block ×3, first 2 shown]
	s_delay_alu instid0(VALU_DEP_4) | instskip(NEXT) | instid1(VALU_DEP_3)
	v_add_f64 v[61:62], v[41:42], v[37:38]
	v_add_f64 v[35:36], v[35:36], v[43:44]
	s_delay_alu instid0(VALU_DEP_3) | instskip(NEXT) | instid1(VALU_DEP_3)
	v_add_f64 v[47:48], v[47:48], v[57:58]
	v_cvt_i32_f64_e32 v61, v[61:62]
	s_delay_alu instid0(VALU_DEP_2) | instskip(NEXT) | instid1(VALU_DEP_2)
	v_add_f64 v[35:36], v[47:48], v[35:36]
	v_cvt_f64_i32_e32 v[59:60], v61
	s_delay_alu instid0(VALU_DEP_2) | instskip(NEXT) | instid1(VALU_DEP_2)
	v_add_f64 v[22:23], v[22:23], v[35:36]
	v_add_f64 v[37:38], v[37:38], -v[59:60]
	s_delay_alu instid0(VALU_DEP_2) | instskip(NEXT) | instid1(VALU_DEP_2)
	v_add_f64 v[22:23], v[31:32], v[22:23]
	v_add_f64 v[43:44], v[41:42], v[37:38]
	s_delay_alu instid0(VALU_DEP_1) | instskip(SKIP_1) | instid1(VALU_DEP_2)
	v_add_f64 v[35:36], v[43:44], -v[37:38]
	v_cmp_le_f64_e32 vcc_lo, 0.5, v[43:44]
	v_add_f64 v[31:32], v[41:42], -v[35:36]
	s_and_b32 s3, vcc_lo, exec_lo
	s_cselect_b32 s5, 0x3ff00000, 0
	v_add_co_ci_u32_e64 v84, s3, 0, v61, vcc_lo
	s_delay_alu instid0(VALU_DEP_2) | instskip(SKIP_1) | instid1(VALU_DEP_1)
	v_add_f64 v[22:23], v[22:23], v[31:32]
	v_add_f64 v[31:32], v[43:44], -s[4:5]
	v_add_f64 v[35:36], v[31:32], v[22:23]
	s_delay_alu instid0(VALU_DEP_1) | instskip(SKIP_1) | instid1(VALU_DEP_2)
	v_mul_f64 v[37:38], v[35:36], s[10:11]
	v_add_f64 v[31:32], v[35:36], -v[31:32]
	v_fma_f64 v[39:40], v[35:36], s[10:11], -v[37:38]
	s_delay_alu instid0(VALU_DEP_2) | instskip(NEXT) | instid1(VALU_DEP_2)
	v_add_f64 v[22:23], v[22:23], -v[31:32]
	v_fma_f64 v[31:32], v[35:36], s[14:15], v[39:40]
	s_delay_alu instid0(VALU_DEP_1) | instskip(NEXT) | instid1(VALU_DEP_1)
	v_fma_f64 v[31:32], v[22:23], s[10:11], v[31:32]
	v_add_f64 v[22:23], v[37:38], v[31:32]
	s_delay_alu instid0(VALU_DEP_1) | instskip(NEXT) | instid1(VALU_DEP_1)
	v_add_f64 v[35:36], v[22:23], -v[37:38]
	v_add_f64 v[31:32], v[31:32], -v[35:36]
	s_cbranch_execz .LBB1_31
	s_branch .LBB1_32
.LBB1_28:
	s_and_not1_saveexec_b32 s3, s4
	s_cbranch_execz .LBB1_26
.LBB1_29:
	s_mov_b32 s4, 0x6dc9c883
	s_mov_b32 s5, 0x3fe45f30
	;; [unrolled: 1-line block ×3, first 2 shown]
	v_mul_f64 v[18:19], |v[4:5]|, s[4:5]
	s_mov_b32 s4, 0x54442d18
	s_mov_b32 s5, 0xbff921fb
	;; [unrolled: 1-line block ×3, first 2 shown]
	s_delay_alu instid0(VALU_DEP_1) | instskip(NEXT) | instid1(VALU_DEP_1)
	v_rndne_f64_e32 v[22:23], v[18:19]
	v_fma_f64 v[18:19], v[22:23], s[4:5], |v[4:5]|
	v_mul_f64 v[20:21], v[22:23], s[10:11]
	s_mov_b32 s4, 0x252049c0
	s_mov_b32 s5, 0xb97b839a
	v_cvt_i32_f64_e32 v83, v[22:23]
	s_delay_alu instid0(VALU_DEP_3) | instskip(NEXT) | instid1(VALU_DEP_3)
	v_fma_f64 v[35:36], v[22:23], s[10:11], v[18:19]
	v_add_f64 v[31:32], v[18:19], v[20:21]
	s_mov_b32 s11, 0x3c91a626
	s_delay_alu instid0(VALU_DEP_1) | instskip(NEXT) | instid1(VALU_DEP_3)
	v_add_f64 v[18:19], v[18:19], -v[31:32]
	v_add_f64 v[31:32], v[31:32], -v[35:36]
	s_delay_alu instid0(VALU_DEP_2) | instskip(SKIP_1) | instid1(VALU_DEP_2)
	v_add_f64 v[18:19], v[18:19], v[20:21]
	v_fma_f64 v[20:21], v[22:23], s[10:11], v[20:21]
	v_add_f64 v[18:19], v[31:32], v[18:19]
	s_delay_alu instid0(VALU_DEP_1) | instskip(NEXT) | instid1(VALU_DEP_1)
	v_add_f64 v[18:19], v[18:19], -v[20:21]
	v_fma_f64 v[20:21], v[22:23], s[4:5], v[18:19]
	s_delay_alu instid0(VALU_DEP_1) | instskip(NEXT) | instid1(VALU_DEP_1)
	v_add_f64 v[18:19], v[35:36], v[20:21]
	v_add_f64 v[31:32], v[18:19], -v[35:36]
	s_delay_alu instid0(VALU_DEP_1) | instskip(SKIP_1) | instid1(SALU_CYCLE_1)
	v_add_f64 v[20:21], v[20:21], -v[31:32]
	s_or_b32 exec_lo, exec_lo, s3
	s_and_b32 vcc_lo, exec_lo, s24
	s_cbranch_vccnz .LBB1_27
.LBB1_30:
                                        ; implicit-def: $vgpr84
                                        ; implicit-def: $vgpr22_vgpr23
                                        ; implicit-def: $vgpr31_vgpr32
.LBB1_31:
	s_mov_b32 s4, 0x6dc9c883
	s_mov_b32 s5, 0x3fe45f30
	;; [unrolled: 1-line block ×3, first 2 shown]
	v_mul_f64 v[22:23], |s[6:7]|, s[4:5]
	s_mov_b32 s4, 0x54442d18
	s_mov_b32 s5, 0xbff921fb
	s_mov_b32 s10, 0x33145c00
	s_delay_alu instid0(VALU_DEP_1) | instskip(NEXT) | instid1(VALU_DEP_1)
	v_rndne_f64_e32 v[35:36], v[22:23]
	v_fma_f64 v[22:23], v[35:36], s[4:5], |s[6:7]|
	v_mul_f64 v[31:32], v[35:36], s[10:11]
	s_mov_b32 s4, 0x252049c0
	s_mov_b32 s5, 0xb97b839a
	v_cvt_i32_f64_e32 v84, v[35:36]
	s_delay_alu instid0(VALU_DEP_3) | instskip(NEXT) | instid1(VALU_DEP_3)
	v_fma_f64 v[39:40], v[35:36], s[10:11], v[22:23]
	v_add_f64 v[37:38], v[22:23], v[31:32]
	s_mov_b32 s11, 0x3c91a626
	s_delay_alu instid0(VALU_DEP_1) | instskip(NEXT) | instid1(VALU_DEP_3)
	v_add_f64 v[22:23], v[22:23], -v[37:38]
	v_add_f64 v[37:38], v[37:38], -v[39:40]
	s_delay_alu instid0(VALU_DEP_2) | instskip(SKIP_1) | instid1(VALU_DEP_2)
	v_add_f64 v[22:23], v[22:23], v[31:32]
	v_fma_f64 v[31:32], v[35:36], s[10:11], v[31:32]
	v_add_f64 v[22:23], v[37:38], v[22:23]
	s_delay_alu instid0(VALU_DEP_1) | instskip(NEXT) | instid1(VALU_DEP_1)
	v_add_f64 v[22:23], v[22:23], -v[31:32]
	v_fma_f64 v[31:32], v[35:36], s[4:5], v[22:23]
	s_delay_alu instid0(VALU_DEP_1) | instskip(NEXT) | instid1(VALU_DEP_1)
	v_add_f64 v[22:23], v[39:40], v[31:32]
	v_add_f64 v[37:38], v[22:23], -v[39:40]
	s_delay_alu instid0(VALU_DEP_1)
	v_add_f64 v[31:32], v[31:32], -v[37:38]
.LBB1_32:
	v_max_f64 v[35:36], |v[29:30]|, |v[29:30]|
	v_max_f64 v[37:38], |v[33:34]|, |v[33:34]|
	s_mov_b32 s4, 0xbd3237f4
	s_mov_b32 s10, 0xb5e68a13
	;; [unrolled: 1-line block ×4, first 2 shown]
	v_cmp_eq_f64_e64 s3, 0, v[29:30]
                                        ; implicit-def: $vgpr88
                                        ; implicit-def: $vgpr49_vgpr50
	s_delay_alu instid0(VALU_DEP_2) | instskip(SKIP_1) | instid1(VALU_DEP_1)
	v_max_f64 v[39:40], v[37:38], v[35:36]
	v_min_f64 v[35:36], v[37:38], v[35:36]
	v_div_scale_f64 v[37:38], null, v[39:40], v[39:40], v[35:36]
	v_div_scale_f64 v[47:48], vcc_lo, v[35:36], v[39:40], v[35:36]
	s_delay_alu instid0(VALU_DEP_2) | instskip(SKIP_2) | instid1(VALU_DEP_1)
	v_rcp_f64_e32 v[41:42], v[37:38]
	s_waitcnt_depctr 0xfff
	v_fma_f64 v[43:44], -v[37:38], v[41:42], 1.0
	v_fma_f64 v[41:42], v[41:42], v[43:44], v[41:42]
	s_delay_alu instid0(VALU_DEP_1) | instskip(NEXT) | instid1(VALU_DEP_1)
	v_fma_f64 v[43:44], -v[37:38], v[41:42], 1.0
	v_fma_f64 v[41:42], v[41:42], v[43:44], v[41:42]
	s_delay_alu instid0(VALU_DEP_1) | instskip(NEXT) | instid1(VALU_DEP_1)
	v_mul_f64 v[43:44], v[47:48], v[41:42]
	v_fma_f64 v[37:38], -v[37:38], v[43:44], v[47:48]
                                        ; implicit-def: $vgpr47_vgpr48
	s_delay_alu instid0(VALU_DEP_1) | instskip(SKIP_1) | instid1(VALU_DEP_2)
	v_div_fmas_f64 v[37:38], v[37:38], v[41:42], v[43:44]
	v_cmp_lt_f64_e64 vcc_lo, |v[33:34]|, |v[29:30]|
	v_div_fixup_f64 v[35:36], v[37:38], v[39:40], v[35:36]
	s_delay_alu instid0(VALU_DEP_1) | instskip(NEXT) | instid1(VALU_DEP_1)
	v_mul_f64 v[37:38], v[35:36], v[35:36]
	v_fma_f64 v[39:40], v[37:38], s[10:11], s[4:5]
	s_mov_b32 s4, 0x69efb384
	s_mov_b32 s5, 0x3f4b2bb0
	;; [unrolled: 1-line block ×4, first 2 shown]
	s_delay_alu instid0(VALU_DEP_1)
	v_fma_f64 v[39:40], v[37:38], v[39:40], s[4:5]
	s_mov_b32 s4, 0xaf56de9b
	s_mov_b32 s5, 0xbf67952d
	s_delay_alu instid0(VALU_DEP_1) | instid1(SALU_CYCLE_1)
	v_fma_f64 v[39:40], v[37:38], v[39:40], s[4:5]
	s_mov_b32 s4, 0xa595c56f
	s_mov_b32 s5, 0x3f7d6d43
	s_delay_alu instid0(VALU_DEP_1) | instid1(SALU_CYCLE_1)
	v_fma_f64 v[39:40], v[37:38], v[39:40], s[4:5]
	s_mov_b32 s4, 0xa57d9582
	s_mov_b32 s5, 0xbf8c6ea4
	s_delay_alu instid0(VALU_DEP_1) | instid1(SALU_CYCLE_1)
	v_fma_f64 v[39:40], v[37:38], v[39:40], s[4:5]
	s_mov_b32 s4, 0x5f08b19f
	s_mov_b32 s5, 0x3f967e29
	s_delay_alu instid0(VALU_DEP_1) | instid1(SALU_CYCLE_1)
	v_fma_f64 v[39:40], v[37:38], v[39:40], s[4:5]
	s_mov_b32 s4, 0xfc27006a
	s_mov_b32 s5, 0xbf9e9ae6
	s_delay_alu instid0(VALU_DEP_1) | instid1(SALU_CYCLE_1)
	v_fma_f64 v[39:40], v[37:38], v[39:40], s[4:5]
	s_mov_b32 s4, 0x5711927a
	s_mov_b32 s5, 0x3fa2c15b
	s_delay_alu instid0(VALU_DEP_1) | instid1(SALU_CYCLE_1)
	v_fma_f64 v[39:40], v[37:38], v[39:40], s[4:5]
	s_mov_b32 s4, 0xe82d3ff0
	s_mov_b32 s5, 0xbfa59976
	s_delay_alu instid0(VALU_DEP_1) | instid1(SALU_CYCLE_1)
	v_fma_f64 v[39:40], v[37:38], v[39:40], s[4:5]
	s_mov_b32 s4, 0x6ef28734
	s_mov_b32 s5, 0x3fa82d5d
	s_delay_alu instid0(VALU_DEP_1) | instid1(SALU_CYCLE_1)
	v_fma_f64 v[39:40], v[37:38], v[39:40], s[4:5]
	s_mov_b32 s4, 0x6a214619
	s_mov_b32 s5, 0xbfaae5ce
	s_delay_alu instid0(VALU_DEP_1) | instid1(SALU_CYCLE_1)
	v_fma_f64 v[39:40], v[37:38], v[39:40], s[4:5]
	s_mov_b32 s4, 0x8427b883
	s_mov_b32 s5, 0x3fae1bb4
	s_delay_alu instid0(VALU_DEP_1) | instid1(SALU_CYCLE_1)
	v_fma_f64 v[39:40], v[37:38], v[39:40], s[4:5]
	s_mov_b32 s4, 0x8b207f05
	s_mov_b32 s5, 0xbfb110e4
	s_delay_alu instid0(VALU_DEP_1) | instid1(SALU_CYCLE_1)
	v_fma_f64 v[39:40], v[37:38], v[39:40], s[4:5]
	s_mov_b32 s4, 0x57b87036
	s_mov_b32 s5, 0x3fb3b136
	s_delay_alu instid0(VALU_DEP_1) | instid1(SALU_CYCLE_1)
	v_fma_f64 v[39:40], v[37:38], v[39:40], s[4:5]
	s_mov_b32 s4, 0x19378e4f
	s_mov_b32 s5, 0xbfb745d1
	s_delay_alu instid0(VALU_DEP_1) | instid1(SALU_CYCLE_1)
	v_fma_f64 v[39:40], v[37:38], v[39:40], s[4:5]
	s_mov_b32 s4, 0x17e1913c
	s_mov_b32 s5, 0x3fbc71c7
	s_delay_alu instid0(VALU_DEP_1) | instid1(SALU_CYCLE_1)
	v_fma_f64 v[39:40], v[37:38], v[39:40], s[4:5]
	s_mov_b32 s4, 0x92376b7d
	s_mov_b32 s5, 0xbfc24924
	s_delay_alu instid0(VALU_DEP_1) | instid1(SALU_CYCLE_1)
	v_fma_f64 v[39:40], v[37:38], v[39:40], s[4:5]
	s_mov_b32 s4, 0x999952cc
	s_mov_b32 s5, 0x3fc99999
	s_delay_alu instid0(VALU_DEP_1) | instid1(SALU_CYCLE_1)
	v_fma_f64 v[39:40], v[37:38], v[39:40], s[4:5]
	s_mov_b32 s4, 0x55555523
	s_mov_b32 s5, 0xbfd55555
	s_delay_alu instid0(VALU_DEP_1) | instid1(SALU_CYCLE_1)
	v_fma_f64 v[39:40], v[37:38], v[39:40], s[4:5]
	s_mov_b32 s5, 0x400921fb
	s_mov_b32 s4, s10
	s_delay_alu instid0(VALU_DEP_1) | instskip(SKIP_1) | instid1(VALU_DEP_2)
	v_mul_f64 v[37:38], v[37:38], v[39:40]
	v_ashrrev_i32_e32 v40, 31, v34
	v_fma_f64 v[35:36], v[35:36], v[37:38], v[35:36]
	s_delay_alu instid0(VALU_DEP_1) | instskip(NEXT) | instid1(VALU_DEP_1)
	v_add_f64 v[37:38], -v[35:36], s[10:11]
	v_dual_cndmask_b32 v36, v36, v38 :: v_dual_cndmask_b32 v35, v35, v37
	v_cmp_gt_i32_e32 vcc_lo, 0, v34
	s_delay_alu instid0(VALU_DEP_2) | instskip(SKIP_2) | instid1(VALU_DEP_3)
	v_add_f64 v[37:38], -v[35:36], s[4:5]
	v_cmp_class_f64_e64 s4, v[29:30], 0x204
	v_cmp_class_f64_e64 s5, v[33:34], 0x204
	v_dual_mov_b32 v39, 0x7f3321d2 :: v_dual_cndmask_b32 v36, v36, v38
	s_delay_alu instid0(VALU_DEP_4) | instskip(SKIP_1) | instid1(VALU_DEP_3)
	v_cndmask_b32_e32 v35, v35, v37, vcc_lo
	v_mov_b32_e32 v37, 0x4002d97c
	v_cndmask_b32_e32 v39, 0x54442d18, v39, vcc_lo
	s_delay_alu instid0(VALU_DEP_2) | instskip(SKIP_1) | instid1(VALU_DEP_1)
	v_cndmask_b32_e32 v37, 0x3fe921fb, v37, vcc_lo
	s_and_b32 vcc_lo, s4, s5
	v_bfi_b32 v37, 0x7fffffff, v37, v30
	v_and_b32_e32 v41, 0x54442d18, v40
	v_and_b32_e32 v40, 0x400921fb, v40
	s_delay_alu instid0(VALU_DEP_1) | instskip(NEXT) | instid1(VALU_DEP_1)
	v_cndmask_b32_e64 v36, v36, v40, s3
	v_cndmask_b32_e32 v90, v36, v37, vcc_lo
	s_delay_alu instid0(VALU_DEP_4) | instskip(SKIP_1) | instid1(VALU_DEP_2)
	v_cndmask_b32_e64 v35, v35, v41, s3
	v_cmp_u_f64_e64 s3, v[33:34], v[29:30]
	v_dual_cndmask_b32 v91, v35, v39 :: v_dual_and_b32 v36, 0x7fffffff, v90
	s_delay_alu instid0(VALU_DEP_1) | instskip(NEXT) | instid1(VALU_DEP_2)
	v_cndmask_b32_e64 v62, v36, 0x7ff80000, s3
	v_cndmask_b32_e64 v61, v91, 0, s3
	s_delay_alu instid0(VALU_DEP_1)
	v_cmp_ngt_f64_e64 s4, 0x41d00000, v[61:62]
	v_trig_preop_f64 v[75:76], v[61:62], 0
	v_trig_preop_f64 v[59:60], v[61:62], 1
	v_ldexp_f64 v[77:78], v[61:62], 0xffffff80
	v_trig_preop_f64 v[57:58], v[61:62], 2
	s_and_saveexec_b32 s5, s4
	s_delay_alu instid0(SALU_CYCLE_1)
	s_xor_b32 s13, exec_lo, s5
	s_cbranch_execz .LBB1_36
; %bb.33:
	v_cmp_le_f64_e32 vcc_lo, 0x7b000000, v[61:62]
	v_mov_b32_e32 v67, 0
	s_mov_b32 s14, 0x33145c07
	s_mov_b32 s15, 0x3c91a626
	s_delay_alu instid0(VALU_DEP_4) | instskip(NEXT) | instid1(VALU_DEP_1)
	v_dual_cndmask_b32 v34, v62, v78 :: v_dual_cndmask_b32 v33, v61, v77
	v_mul_f64 v[35:36], v[75:76], v[33:34]
	v_mul_f64 v[37:38], v[59:60], v[33:34]
	;; [unrolled: 1-line block ×3, first 2 shown]
	s_delay_alu instid0(VALU_DEP_3) | instskip(NEXT) | instid1(VALU_DEP_3)
	v_fma_f64 v[39:40], v[75:76], v[33:34], -v[35:36]
	v_fma_f64 v[65:66], v[59:60], v[33:34], -v[37:38]
	s_delay_alu instid0(VALU_DEP_3) | instskip(NEXT) | instid1(VALU_DEP_3)
	v_fma_f64 v[33:34], v[57:58], v[33:34], -v[63:64]
	v_add_f64 v[41:42], v[37:38], v[39:40]
	s_delay_alu instid0(VALU_DEP_1) | instskip(SKIP_1) | instid1(VALU_DEP_2)
	v_add_f64 v[43:44], v[41:42], -v[37:38]
	v_add_f64 v[49:50], v[35:36], v[41:42]
	v_add_f64 v[47:48], v[41:42], -v[43:44]
	v_add_f64 v[39:40], v[39:40], -v[43:44]
	s_delay_alu instid0(VALU_DEP_3) | instskip(SKIP_1) | instid1(VALU_DEP_4)
	v_ldexp_f64 v[43:44], v[49:50], -2
	v_add_f64 v[35:36], v[49:50], -v[35:36]
	v_add_f64 v[37:38], v[37:38], -v[47:48]
	v_add_f64 v[47:48], v[63:64], v[65:66]
	s_delay_alu instid0(VALU_DEP_4) | instskip(NEXT) | instid1(VALU_DEP_4)
	v_cmp_neq_f64_e64 vcc_lo, 0x7ff00000, |v[43:44]|
	v_add_f64 v[35:36], v[41:42], -v[35:36]
	s_delay_alu instid0(VALU_DEP_4) | instskip(SKIP_1) | instid1(VALU_DEP_2)
	v_add_f64 v[37:38], v[39:40], v[37:38]
	v_fract_f64_e32 v[39:40], v[43:44]
	v_add_f64 v[41:42], v[47:48], v[37:38]
	s_delay_alu instid0(VALU_DEP_2) | instskip(NEXT) | instid1(VALU_DEP_1)
	v_dual_cndmask_b32 v40, 0, v40 :: v_dual_cndmask_b32 v39, 0, v39
	v_ldexp_f64 v[39:40], v[39:40], 2
	s_delay_alu instid0(VALU_DEP_3) | instskip(NEXT) | instid1(VALU_DEP_1)
	v_add_f64 v[43:44], v[35:36], v[41:42]
	v_add_f64 v[49:50], v[43:44], v[39:40]
	v_add_f64 v[35:36], v[43:44], -v[35:36]
	s_delay_alu instid0(VALU_DEP_2) | instskip(SKIP_1) | instid1(VALU_DEP_3)
	v_cmp_gt_f64_e32 vcc_lo, 0, v[49:50]
	v_add_f64 v[49:50], v[47:48], -v[63:64]
	v_add_f64 v[35:36], v[41:42], -v[35:36]
	v_cndmask_b32_e64 v68, 0, 0x40100000, vcc_lo
	s_delay_alu instid0(VALU_DEP_3) | instskip(SKIP_1) | instid1(VALU_DEP_3)
	v_add_f64 v[72:73], v[47:48], -v[49:50]
	v_add_f64 v[49:50], v[65:66], -v[49:50]
	v_add_f64 v[39:40], v[39:40], v[67:68]
	v_add_f64 v[68:69], v[41:42], -v[47:48]
	s_delay_alu instid0(VALU_DEP_4) | instskip(NEXT) | instid1(VALU_DEP_3)
	v_add_f64 v[65:66], v[63:64], -v[72:73]
	v_add_f64 v[70:71], v[43:44], v[39:40]
	s_delay_alu instid0(VALU_DEP_3) | instskip(SKIP_1) | instid1(VALU_DEP_4)
	v_add_f64 v[79:80], v[41:42], -v[68:69]
	v_add_f64 v[37:38], v[37:38], -v[68:69]
	v_add_f64 v[49:50], v[49:50], v[65:66]
	s_delay_alu instid0(VALU_DEP_4) | instskip(NEXT) | instid1(VALU_DEP_4)
	v_cvt_i32_f64_e32 v70, v[70:71]
	v_add_f64 v[47:48], v[47:48], -v[79:80]
	s_delay_alu instid0(VALU_DEP_2) | instskip(NEXT) | instid1(VALU_DEP_2)
	v_cvt_f64_i32_e32 v[68:69], v70
	v_add_f64 v[37:38], v[37:38], v[47:48]
	s_delay_alu instid0(VALU_DEP_2) | instskip(NEXT) | instid1(VALU_DEP_2)
	v_add_f64 v[39:40], v[39:40], -v[68:69]
	v_add_f64 v[37:38], v[49:50], v[37:38]
	s_delay_alu instid0(VALU_DEP_2) | instskip(NEXT) | instid1(VALU_DEP_2)
	v_add_f64 v[47:48], v[43:44], v[39:40]
	v_add_f64 v[33:34], v[33:34], v[37:38]
	s_delay_alu instid0(VALU_DEP_2) | instskip(SKIP_1) | instid1(VALU_DEP_3)
	v_add_f64 v[37:38], v[47:48], -v[39:40]
	v_cmp_le_f64_e32 vcc_lo, 0.5, v[47:48]
	v_add_f64 v[33:34], v[35:36], v[33:34]
	s_delay_alu instid0(VALU_DEP_3) | instskip(SKIP_2) | instid1(VALU_DEP_3)
	v_add_f64 v[35:36], v[43:44], -v[37:38]
	v_cndmask_b32_e64 v68, 0, 0x3ff00000, vcc_lo
	v_add_co_ci_u32_e64 v88, s5, 0, v70, vcc_lo
	v_add_f64 v[33:34], v[33:34], v[35:36]
	s_delay_alu instid0(VALU_DEP_3) | instskip(NEXT) | instid1(VALU_DEP_1)
	v_add_f64 v[35:36], v[47:48], -v[67:68]
	v_add_f64 v[37:38], v[35:36], v[33:34]
	s_delay_alu instid0(VALU_DEP_1) | instskip(SKIP_1) | instid1(VALU_DEP_2)
	v_mul_f64 v[39:40], v[37:38], s[10:11]
	v_add_f64 v[35:36], v[37:38], -v[35:36]
	v_fma_f64 v[41:42], v[37:38], s[10:11], -v[39:40]
	s_delay_alu instid0(VALU_DEP_2) | instskip(NEXT) | instid1(VALU_DEP_2)
	v_add_f64 v[33:34], v[33:34], -v[35:36]
	v_fma_f64 v[35:36], v[37:38], s[14:15], v[41:42]
	s_delay_alu instid0(VALU_DEP_1) | instskip(NEXT) | instid1(VALU_DEP_1)
	v_fma_f64 v[33:34], v[33:34], s[10:11], v[35:36]
	v_add_f64 v[47:48], v[39:40], v[33:34]
	s_delay_alu instid0(VALU_DEP_1) | instskip(NEXT) | instid1(VALU_DEP_1)
	v_add_f64 v[35:36], v[47:48], -v[39:40]
	v_add_f64 v[49:50], v[33:34], -v[35:36]
	s_and_not1_saveexec_b32 s5, s13
	s_cbranch_execnz .LBB1_37
.LBB1_34:
	s_or_b32 exec_lo, exec_lo, s5
	s_delay_alu instid0(SALU_CYCLE_1)
	s_and_b32 vcc_lo, exec_lo, s24
	s_cbranch_vccz .LBB1_38
.LBB1_35:
	v_cmp_le_f64_e64 vcc_lo, 0x7b000000, |s[6:7]|
	s_and_b32 s5, s7, 0x7fffffff
	s_mov_b32 s10, 0
	s_mov_b32 s14, 0x54442d18
	;; [unrolled: 1-line block ×5, first 2 shown]
	v_cndmask_b32_e32 v34, s5, v13, vcc_lo
	v_cndmask_b32_e32 v33, s6, v12, vcc_lo
	s_delay_alu instid0(VALU_DEP_1) | instskip(SKIP_2) | instid1(VALU_DEP_3)
	v_mul_f64 v[35:36], v[10:11], v[33:34]
	v_mul_f64 v[37:38], v[8:9], v[33:34]
	;; [unrolled: 1-line block ×3, first 2 shown]
	v_fma_f64 v[39:40], v[10:11], v[33:34], -v[35:36]
	s_delay_alu instid0(VALU_DEP_3) | instskip(NEXT) | instid1(VALU_DEP_3)
	v_fma_f64 v[69:70], v[8:9], v[33:34], -v[37:38]
	v_fma_f64 v[33:34], v[6:7], v[33:34], -v[67:68]
	s_delay_alu instid0(VALU_DEP_3) | instskip(NEXT) | instid1(VALU_DEP_1)
	v_add_f64 v[41:42], v[37:38], v[39:40]
	v_add_f64 v[43:44], v[41:42], -v[37:38]
	v_add_f64 v[65:66], v[35:36], v[41:42]
	s_delay_alu instid0(VALU_DEP_2) | instskip(SKIP_1) | instid1(VALU_DEP_3)
	v_add_f64 v[63:64], v[41:42], -v[43:44]
	v_add_f64 v[39:40], v[39:40], -v[43:44]
	v_ldexp_f64 v[43:44], v[65:66], -2
	v_add_f64 v[35:36], v[65:66], -v[35:36]
	s_delay_alu instid0(VALU_DEP_4) | instskip(SKIP_1) | instid1(VALU_DEP_4)
	v_add_f64 v[37:38], v[37:38], -v[63:64]
	v_add_f64 v[63:64], v[67:68], v[69:70]
	v_cmp_neq_f64_e64 vcc_lo, 0x7ff00000, |v[43:44]|
	s_delay_alu instid0(VALU_DEP_4) | instskip(NEXT) | instid1(VALU_DEP_4)
	v_add_f64 v[35:36], v[41:42], -v[35:36]
	v_add_f64 v[37:38], v[39:40], v[37:38]
	v_fract_f64_e32 v[39:40], v[43:44]
	s_delay_alu instid0(VALU_DEP_2) | instskip(NEXT) | instid1(VALU_DEP_2)
	v_add_f64 v[41:42], v[63:64], v[37:38]
	v_dual_cndmask_b32 v40, 0, v40 :: v_dual_cndmask_b32 v39, 0, v39
	s_delay_alu instid0(VALU_DEP_1) | instskip(NEXT) | instid1(VALU_DEP_3)
	v_ldexp_f64 v[39:40], v[39:40], 2
	v_add_f64 v[43:44], v[35:36], v[41:42]
	v_add_f64 v[71:72], v[41:42], -v[63:64]
	s_delay_alu instid0(VALU_DEP_2) | instskip(NEXT) | instid1(VALU_DEP_2)
	v_add_f64 v[65:66], v[43:44], v[39:40]
	v_add_f64 v[81:82], v[41:42], -v[71:72]
	v_add_f64 v[37:38], v[37:38], -v[71:72]
	;; [unrolled: 1-line block ×3, first 2 shown]
	s_delay_alu instid0(VALU_DEP_4) | instskip(SKIP_1) | instid1(VALU_DEP_3)
	v_cmp_gt_f64_e32 vcc_lo, 0, v[65:66]
	v_add_f64 v[65:66], v[63:64], -v[67:68]
	v_add_f64 v[35:36], v[41:42], -v[35:36]
	s_and_b32 s5, vcc_lo, exec_lo
	s_cselect_b32 s11, 0x40100000, 0
	s_delay_alu instid0(VALU_DEP_2) | instskip(SKIP_3) | instid1(VALU_DEP_4)
	v_add_f64 v[79:80], v[63:64], -v[65:66]
	v_add_f64 v[39:40], v[39:40], s[10:11]
	v_add_f64 v[65:66], v[69:70], -v[65:66]
	v_add_f64 v[63:64], v[63:64], -v[81:82]
	;; [unrolled: 1-line block ×3, first 2 shown]
	s_delay_alu instid0(VALU_DEP_4) | instskip(NEXT) | instid1(VALU_DEP_3)
	v_add_f64 v[73:74], v[43:44], v[39:40]
	v_add_f64 v[37:38], v[37:38], v[63:64]
	s_delay_alu instid0(VALU_DEP_3) | instskip(NEXT) | instid1(VALU_DEP_3)
	v_add_f64 v[65:66], v[65:66], v[69:70]
	v_cvt_i32_f64_e32 v73, v[73:74]
	s_delay_alu instid0(VALU_DEP_2) | instskip(NEXT) | instid1(VALU_DEP_2)
	v_add_f64 v[37:38], v[65:66], v[37:38]
	v_cvt_f64_i32_e32 v[71:72], v73
	s_delay_alu instid0(VALU_DEP_2) | instskip(NEXT) | instid1(VALU_DEP_2)
	v_add_f64 v[33:34], v[33:34], v[37:38]
	v_add_f64 v[39:40], v[39:40], -v[71:72]
	s_delay_alu instid0(VALU_DEP_2) | instskip(NEXT) | instid1(VALU_DEP_2)
	v_add_f64 v[33:34], v[35:36], v[33:34]
	v_add_f64 v[63:64], v[43:44], v[39:40]
	s_delay_alu instid0(VALU_DEP_1) | instskip(SKIP_1) | instid1(VALU_DEP_2)
	v_add_f64 v[37:38], v[63:64], -v[39:40]
	v_cmp_le_f64_e32 vcc_lo, 0.5, v[63:64]
	v_add_f64 v[35:36], v[43:44], -v[37:38]
	s_and_b32 s5, vcc_lo, exec_lo
	s_cselect_b32 s11, 0x3ff00000, 0
	v_add_co_ci_u32_e64 v85, s5, 0, v73, vcc_lo
	s_delay_alu instid0(VALU_DEP_2) | instskip(SKIP_1) | instid1(VALU_DEP_1)
	v_add_f64 v[33:34], v[33:34], v[35:36]
	v_add_f64 v[35:36], v[63:64], -s[10:11]
	v_add_f64 v[37:38], v[35:36], v[33:34]
	s_delay_alu instid0(VALU_DEP_1) | instskip(SKIP_1) | instid1(VALU_DEP_2)
	v_mul_f64 v[39:40], v[37:38], s[14:15]
	v_add_f64 v[35:36], v[37:38], -v[35:36]
	v_fma_f64 v[41:42], v[37:38], s[14:15], -v[39:40]
	s_delay_alu instid0(VALU_DEP_2) | instskip(NEXT) | instid1(VALU_DEP_2)
	v_add_f64 v[33:34], v[33:34], -v[35:36]
	v_fma_f64 v[35:36], v[37:38], s[18:19], v[41:42]
	s_delay_alu instid0(VALU_DEP_1) | instskip(NEXT) | instid1(VALU_DEP_1)
	v_fma_f64 v[35:36], v[33:34], s[14:15], v[35:36]
	v_add_f64 v[33:34], v[39:40], v[35:36]
	s_delay_alu instid0(VALU_DEP_1) | instskip(NEXT) | instid1(VALU_DEP_1)
	v_add_f64 v[37:38], v[33:34], -v[39:40]
	v_add_f64 v[35:36], v[35:36], -v[37:38]
	s_cbranch_execz .LBB1_39
	s_branch .LBB1_40
.LBB1_36:
	s_and_not1_saveexec_b32 s5, s13
	s_cbranch_execz .LBB1_34
.LBB1_37:
	s_mov_b32 s10, 0x6dc9c883
	s_mov_b32 s11, 0x3fe45f30
	;; [unrolled: 1-line block ×3, first 2 shown]
	v_mul_f64 v[33:34], v[61:62], s[10:11]
	s_mov_b32 s10, 0x54442d18
	s_mov_b32 s11, 0xbff921fb
	;; [unrolled: 1-line block ×3, first 2 shown]
	s_delay_alu instid0(VALU_DEP_1) | instskip(NEXT) | instid1(VALU_DEP_1)
	v_rndne_f64_e32 v[33:34], v[33:34]
	v_fma_f64 v[35:36], v[33:34], s[10:11], v[61:62]
	v_mul_f64 v[37:38], v[33:34], s[14:15]
	s_mov_b32 s10, 0x252049c0
	s_mov_b32 s11, 0xb97b839a
	v_cvt_i32_f64_e32 v88, v[33:34]
	s_delay_alu instid0(VALU_DEP_3) | instskip(NEXT) | instid1(VALU_DEP_3)
	v_fma_f64 v[41:42], v[33:34], s[14:15], v[35:36]
	v_add_f64 v[39:40], v[35:36], v[37:38]
	s_mov_b32 s15, 0x3c91a626
	s_delay_alu instid0(VALU_DEP_1) | instskip(NEXT) | instid1(VALU_DEP_3)
	v_add_f64 v[35:36], v[35:36], -v[39:40]
	v_add_f64 v[39:40], v[39:40], -v[41:42]
	s_delay_alu instid0(VALU_DEP_2) | instskip(SKIP_1) | instid1(VALU_DEP_2)
	v_add_f64 v[35:36], v[35:36], v[37:38]
	v_fma_f64 v[37:38], v[33:34], s[14:15], v[37:38]
	v_add_f64 v[35:36], v[39:40], v[35:36]
	s_delay_alu instid0(VALU_DEP_1) | instskip(NEXT) | instid1(VALU_DEP_1)
	v_add_f64 v[35:36], v[35:36], -v[37:38]
	v_fma_f64 v[35:36], v[33:34], s[10:11], v[35:36]
	s_delay_alu instid0(VALU_DEP_1) | instskip(NEXT) | instid1(VALU_DEP_1)
	v_add_f64 v[47:48], v[41:42], v[35:36]
	v_add_f64 v[37:38], v[47:48], -v[41:42]
	s_delay_alu instid0(VALU_DEP_1) | instskip(SKIP_1) | instid1(SALU_CYCLE_1)
	v_add_f64 v[49:50], v[35:36], -v[37:38]
	s_or_b32 exec_lo, exec_lo, s5
	s_and_b32 vcc_lo, exec_lo, s24
	s_cbranch_vccnz .LBB1_35
.LBB1_38:
                                        ; implicit-def: $vgpr85
                                        ; implicit-def: $vgpr33_vgpr34
                                        ; implicit-def: $vgpr35_vgpr36
.LBB1_39:
	s_mov_b32 s10, 0x6dc9c883
	s_mov_b32 s11, 0x3fe45f30
	;; [unrolled: 1-line block ×3, first 2 shown]
	v_mul_f64 v[33:34], |s[6:7]|, s[10:11]
	s_mov_b32 s10, 0x54442d18
	s_mov_b32 s11, 0xbff921fb
	;; [unrolled: 1-line block ×3, first 2 shown]
	s_delay_alu instid0(VALU_DEP_1) | instskip(NEXT) | instid1(VALU_DEP_1)
	v_rndne_f64_e32 v[37:38], v[33:34]
	v_fma_f64 v[33:34], v[37:38], s[10:11], |s[6:7]|
	v_mul_f64 v[35:36], v[37:38], s[14:15]
	s_mov_b32 s10, 0x252049c0
	s_mov_b32 s11, 0xb97b839a
	v_cvt_i32_f64_e32 v85, v[37:38]
	s_delay_alu instid0(VALU_DEP_3) | instskip(NEXT) | instid1(VALU_DEP_3)
	v_fma_f64 v[41:42], v[37:38], s[14:15], v[33:34]
	v_add_f64 v[39:40], v[33:34], v[35:36]
	s_mov_b32 s15, 0x3c91a626
	s_delay_alu instid0(VALU_DEP_1) | instskip(NEXT) | instid1(VALU_DEP_3)
	v_add_f64 v[33:34], v[33:34], -v[39:40]
	v_add_f64 v[39:40], v[39:40], -v[41:42]
	s_delay_alu instid0(VALU_DEP_2) | instskip(SKIP_1) | instid1(VALU_DEP_2)
	v_add_f64 v[33:34], v[33:34], v[35:36]
	v_fma_f64 v[35:36], v[37:38], s[14:15], v[35:36]
	v_add_f64 v[33:34], v[39:40], v[33:34]
	s_delay_alu instid0(VALU_DEP_1) | instskip(NEXT) | instid1(VALU_DEP_1)
	v_add_f64 v[33:34], v[33:34], -v[35:36]
	v_fma_f64 v[35:36], v[37:38], s[10:11], v[33:34]
	s_delay_alu instid0(VALU_DEP_1) | instskip(NEXT) | instid1(VALU_DEP_1)
	v_add_f64 v[33:34], v[41:42], v[35:36]
	v_add_f64 v[39:40], v[33:34], -v[41:42]
	s_delay_alu instid0(VALU_DEP_1)
	v_add_f64 v[35:36], v[35:36], -v[39:40]
.LBB1_40:
                                        ; implicit-def: $vgpr86
                                        ; implicit-def: $vgpr37_vgpr38
                                        ; implicit-def: $vgpr39_vgpr40
	s_and_saveexec_b32 s5, s12
	s_delay_alu instid0(SALU_CYCLE_1)
	s_xor_b32 s10, exec_lo, s5
	s_cbranch_execz .LBB1_42
; %bb.41:
	v_cmp_le_f64_e64 vcc_lo, 0x7b000000, |v[4:5]|
	v_mov_b32_e32 v79, 0
	s_mov_b32 s14, 0x54442d18
	s_mov_b32 s15, 0x3ff921fb
	;; [unrolled: 1-line block ×4, first 2 shown]
	v_dual_cndmask_b32 v38, v89, v56 :: v_dual_cndmask_b32 v37, v4, v55
	s_delay_alu instid0(VALU_DEP_1) | instskip(SKIP_2) | instid1(VALU_DEP_3)
	v_mul_f64 v[39:40], v[53:54], v[37:38]
	v_mul_f64 v[41:42], v[51:52], v[37:38]
	;; [unrolled: 1-line block ×3, first 2 shown]
	v_fma_f64 v[43:44], v[53:54], v[37:38], -v[39:40]
	s_delay_alu instid0(VALU_DEP_3) | instskip(NEXT) | instid1(VALU_DEP_3)
	v_fma_f64 v[73:74], v[51:52], v[37:38], -v[41:42]
	v_fma_f64 v[37:38], v[45:46], v[37:38], -v[71:72]
	s_delay_alu instid0(VALU_DEP_3) | instskip(NEXT) | instid1(VALU_DEP_1)
	v_add_f64 v[63:64], v[41:42], v[43:44]
	v_add_f64 v[65:66], v[63:64], -v[41:42]
	v_add_f64 v[69:70], v[39:40], v[63:64]
	s_delay_alu instid0(VALU_DEP_2) | instskip(SKIP_1) | instid1(VALU_DEP_3)
	v_add_f64 v[67:68], v[63:64], -v[65:66]
	v_add_f64 v[43:44], v[43:44], -v[65:66]
	v_ldexp_f64 v[65:66], v[69:70], -2
	v_add_f64 v[39:40], v[69:70], -v[39:40]
	s_delay_alu instid0(VALU_DEP_4) | instskip(SKIP_1) | instid1(VALU_DEP_4)
	v_add_f64 v[41:42], v[41:42], -v[67:68]
	v_add_f64 v[67:68], v[71:72], v[73:74]
	v_cmp_neq_f64_e64 vcc_lo, 0x7ff00000, |v[65:66]|
	s_delay_alu instid0(VALU_DEP_4) | instskip(NEXT) | instid1(VALU_DEP_4)
	v_add_f64 v[39:40], v[63:64], -v[39:40]
	v_add_f64 v[41:42], v[43:44], v[41:42]
	v_fract_f64_e32 v[43:44], v[65:66]
	s_delay_alu instid0(VALU_DEP_2) | instskip(NEXT) | instid1(VALU_DEP_2)
	v_add_f64 v[63:64], v[67:68], v[41:42]
	v_dual_cndmask_b32 v44, 0, v44 :: v_dual_cndmask_b32 v43, 0, v43
	s_delay_alu instid0(VALU_DEP_1) | instskip(NEXT) | instid1(VALU_DEP_3)
	v_ldexp_f64 v[43:44], v[43:44], 2
	v_add_f64 v[65:66], v[39:40], v[63:64]
	s_delay_alu instid0(VALU_DEP_1) | instskip(SKIP_1) | instid1(VALU_DEP_2)
	v_add_f64 v[69:70], v[65:66], v[43:44]
	v_add_f64 v[39:40], v[65:66], -v[39:40]
	v_cmp_gt_f64_e32 vcc_lo, 0, v[69:70]
	v_add_f64 v[69:70], v[67:68], -v[71:72]
	s_delay_alu instid0(VALU_DEP_3) | instskip(SKIP_1) | instid1(VALU_DEP_3)
	v_add_f64 v[39:40], v[63:64], -v[39:40]
	v_cndmask_b32_e64 v80, 0, 0x40100000, vcc_lo
	v_add_f64 v[92:93], v[67:68], -v[69:70]
	v_add_f64 v[69:70], v[73:74], -v[69:70]
	s_delay_alu instid0(VALU_DEP_3) | instskip(SKIP_1) | instid1(VALU_DEP_4)
	v_add_f64 v[43:44], v[43:44], v[79:80]
	v_add_f64 v[80:81], v[63:64], -v[67:68]
	v_add_f64 v[73:74], v[71:72], -v[92:93]
	s_delay_alu instid0(VALU_DEP_3) | instskip(NEXT) | instid1(VALU_DEP_3)
	v_add_f64 v[86:87], v[65:66], v[43:44]
	v_add_f64 v[94:95], v[63:64], -v[80:81]
	v_add_f64 v[41:42], v[41:42], -v[80:81]
	s_delay_alu instid0(VALU_DEP_4) | instskip(NEXT) | instid1(VALU_DEP_4)
	v_add_f64 v[69:70], v[69:70], v[73:74]
	v_cvt_i32_f64_e32 v82, v[86:87]
	s_delay_alu instid0(VALU_DEP_4) | instskip(NEXT) | instid1(VALU_DEP_2)
	v_add_f64 v[67:68], v[67:68], -v[94:95]
	v_cvt_f64_i32_e32 v[80:81], v82
	s_delay_alu instid0(VALU_DEP_2) | instskip(NEXT) | instid1(VALU_DEP_2)
	v_add_f64 v[41:42], v[41:42], v[67:68]
	v_add_f64 v[43:44], v[43:44], -v[80:81]
	s_delay_alu instid0(VALU_DEP_2) | instskip(NEXT) | instid1(VALU_DEP_2)
	v_add_f64 v[41:42], v[69:70], v[41:42]
	v_add_f64 v[67:68], v[65:66], v[43:44]
	s_delay_alu instid0(VALU_DEP_2) | instskip(NEXT) | instid1(VALU_DEP_2)
	v_add_f64 v[37:38], v[37:38], v[41:42]
	v_add_f64 v[41:42], v[67:68], -v[43:44]
	v_cmp_le_f64_e32 vcc_lo, 0.5, v[67:68]
	s_delay_alu instid0(VALU_DEP_3) | instskip(NEXT) | instid1(VALU_DEP_3)
	v_add_f64 v[37:38], v[39:40], v[37:38]
	v_add_f64 v[39:40], v[65:66], -v[41:42]
	v_cndmask_b32_e64 v80, 0, 0x3ff00000, vcc_lo
	v_add_co_ci_u32_e64 v86, s5, 0, v82, vcc_lo
	s_delay_alu instid0(VALU_DEP_3) | instskip(NEXT) | instid1(VALU_DEP_3)
	v_add_f64 v[37:38], v[37:38], v[39:40]
	v_add_f64 v[39:40], v[67:68], -v[79:80]
	s_delay_alu instid0(VALU_DEP_1) | instskip(NEXT) | instid1(VALU_DEP_1)
	v_add_f64 v[41:42], v[39:40], v[37:38]
	v_mul_f64 v[43:44], v[41:42], s[14:15]
	v_add_f64 v[39:40], v[41:42], -v[39:40]
	s_delay_alu instid0(VALU_DEP_2) | instskip(NEXT) | instid1(VALU_DEP_2)
	v_fma_f64 v[63:64], v[41:42], s[14:15], -v[43:44]
	v_add_f64 v[37:38], v[37:38], -v[39:40]
	s_delay_alu instid0(VALU_DEP_2) | instskip(NEXT) | instid1(VALU_DEP_1)
	v_fma_f64 v[39:40], v[41:42], s[18:19], v[63:64]
	v_fma_f64 v[39:40], v[37:38], s[14:15], v[39:40]
	s_delay_alu instid0(VALU_DEP_1) | instskip(NEXT) | instid1(VALU_DEP_1)
	v_add_f64 v[37:38], v[43:44], v[39:40]
	v_add_f64 v[41:42], v[37:38], -v[43:44]
	s_delay_alu instid0(VALU_DEP_1)
	v_add_f64 v[39:40], v[39:40], -v[41:42]
	s_and_not1_saveexec_b32 s5, s10
	s_cbranch_execz .LBB1_44
	s_branch .LBB1_43
.LBB1_42:
	s_and_not1_saveexec_b32 s5, s10
	s_cbranch_execz .LBB1_44
.LBB1_43:
	s_mov_b32 s10, 0x6dc9c883
	s_mov_b32 s11, 0x3fe45f30
	;; [unrolled: 1-line block ×3, first 2 shown]
	v_mul_f64 v[37:38], |v[4:5]|, s[10:11]
	s_mov_b32 s10, 0x54442d18
	s_mov_b32 s11, 0xbff921fb
	;; [unrolled: 1-line block ×3, first 2 shown]
	s_delay_alu instid0(VALU_DEP_1) | instskip(NEXT) | instid1(VALU_DEP_1)
	v_rndne_f64_e32 v[41:42], v[37:38]
	v_fma_f64 v[37:38], v[41:42], s[10:11], |v[4:5]|
	v_mul_f64 v[39:40], v[41:42], s[14:15]
	s_mov_b32 s10, 0x252049c0
	s_mov_b32 s11, 0xb97b839a
	v_cvt_i32_f64_e32 v86, v[41:42]
	s_delay_alu instid0(VALU_DEP_3) | instskip(NEXT) | instid1(VALU_DEP_3)
	v_fma_f64 v[63:64], v[41:42], s[14:15], v[37:38]
	v_add_f64 v[43:44], v[37:38], v[39:40]
	s_mov_b32 s15, 0x3c91a626
	s_delay_alu instid0(VALU_DEP_1) | instskip(NEXT) | instid1(VALU_DEP_3)
	v_add_f64 v[37:38], v[37:38], -v[43:44]
	v_add_f64 v[43:44], v[43:44], -v[63:64]
	s_delay_alu instid0(VALU_DEP_2) | instskip(SKIP_1) | instid1(VALU_DEP_2)
	v_add_f64 v[37:38], v[37:38], v[39:40]
	v_fma_f64 v[39:40], v[41:42], s[14:15], v[39:40]
	v_add_f64 v[37:38], v[43:44], v[37:38]
	s_delay_alu instid0(VALU_DEP_1) | instskip(NEXT) | instid1(VALU_DEP_1)
	v_add_f64 v[37:38], v[37:38], -v[39:40]
	v_fma_f64 v[39:40], v[41:42], s[10:11], v[37:38]
	s_delay_alu instid0(VALU_DEP_1) | instskip(NEXT) | instid1(VALU_DEP_1)
	v_add_f64 v[37:38], v[63:64], v[39:40]
	v_add_f64 v[43:44], v[37:38], -v[63:64]
	s_delay_alu instid0(VALU_DEP_1)
	v_add_f64 v[39:40], v[39:40], -v[43:44]
.LBB1_44:
	s_or_b32 exec_lo, exec_lo, s5
                                        ; implicit-def: $vgpr87
                                        ; implicit-def: $vgpr41_vgpr42
                                        ; implicit-def: $vgpr43_vgpr44
	s_and_saveexec_b32 s5, s12
	s_delay_alu instid0(SALU_CYCLE_1)
	s_xor_b32 s10, exec_lo, s5
	s_cbranch_execz .LBB1_48
; %bb.45:
	v_cmp_le_f64_e64 vcc_lo, 0x7b000000, |v[4:5]|
	s_mov_b32 s14, 0x54442d18
	s_mov_b32 s15, 0x3ff921fb
	;; [unrolled: 1-line block ×4, first 2 shown]
	v_dual_cndmask_b32 v42, v89, v56 :: v_dual_cndmask_b32 v41, v4, v55
	s_delay_alu instid0(VALU_DEP_1) | instskip(SKIP_1) | instid1(VALU_DEP_2)
	v_mul_f64 v[63:64], v[53:54], v[41:42]
	v_mul_f64 v[43:44], v[51:52], v[41:42]
	v_fma_f64 v[65:66], v[53:54], v[41:42], -v[63:64]
	s_delay_alu instid0(VALU_DEP_1) | instskip(NEXT) | instid1(VALU_DEP_1)
	v_add_f64 v[67:68], v[43:44], v[65:66]
	v_add_f64 v[69:70], v[63:64], v[67:68]
	s_delay_alu instid0(VALU_DEP_1) | instskip(SKIP_1) | instid1(VALU_DEP_2)
	v_ldexp_f64 v[71:72], v[69:70], -2
	v_add_f64 v[63:64], v[69:70], -v[63:64]
	v_fract_f64_e32 v[73:74], v[71:72]
	v_cmp_neq_f64_e64 vcc_lo, 0x7ff00000, |v[71:72]|
	s_delay_alu instid0(VALU_DEP_3) | instskip(NEXT) | instid1(VALU_DEP_3)
	v_add_f64 v[63:64], v[67:68], -v[63:64]
	v_dual_cndmask_b32 v72, 0, v74 :: v_dual_cndmask_b32 v71, 0, v73
	v_add_f64 v[73:74], v[67:68], -v[43:44]
	s_delay_alu instid0(VALU_DEP_1) | instskip(SKIP_1) | instid1(VALU_DEP_1)
	v_add_f64 v[65:66], v[65:66], -v[73:74]
	v_add_f64 v[73:74], v[67:68], -v[73:74]
	;; [unrolled: 1-line block ×3, first 2 shown]
	v_fma_f64 v[43:44], v[51:52], v[41:42], -v[43:44]
	s_delay_alu instid0(VALU_DEP_2) | instskip(SKIP_1) | instid1(VALU_DEP_1)
	v_add_f64 v[65:66], v[65:66], v[73:74]
	v_mul_f64 v[73:74], v[45:46], v[41:42]
	v_add_f64 v[79:80], v[73:74], v[43:44]
	v_fma_f64 v[41:42], v[45:46], v[41:42], -v[73:74]
	s_delay_alu instid0(VALU_DEP_2) | instskip(NEXT) | instid1(VALU_DEP_1)
	v_add_f64 v[81:82], v[79:80], v[65:66]
	v_add_f64 v[69:70], v[81:82], -v[79:80]
	v_add_f64 v[67:68], v[63:64], v[81:82]
	s_delay_alu instid0(VALU_DEP_2) | instskip(SKIP_1) | instid1(VALU_DEP_3)
	v_add_f64 v[65:66], v[65:66], -v[69:70]
	v_add_f64 v[69:70], v[81:82], -v[69:70]
	;; [unrolled: 1-line block ×3, first 2 shown]
	s_delay_alu instid0(VALU_DEP_2) | instskip(NEXT) | instid1(VALU_DEP_2)
	v_add_f64 v[69:70], v[79:80], -v[69:70]
	v_add_f64 v[63:64], v[81:82], -v[63:64]
	s_delay_alu instid0(VALU_DEP_2) | instskip(SKIP_1) | instid1(VALU_DEP_1)
	v_add_f64 v[65:66], v[65:66], v[69:70]
	v_add_f64 v[69:70], v[79:80], -v[73:74]
	v_add_f64 v[43:44], v[43:44], -v[69:70]
	v_add_f64 v[69:70], v[79:80], -v[69:70]
	s_delay_alu instid0(VALU_DEP_1) | instskip(NEXT) | instid1(VALU_DEP_1)
	v_add_f64 v[69:70], v[73:74], -v[69:70]
	v_add_f64 v[43:44], v[43:44], v[69:70]
	s_delay_alu instid0(VALU_DEP_1) | instskip(NEXT) | instid1(VALU_DEP_1)
	v_add_f64 v[43:44], v[43:44], v[65:66]
	v_add_f64 v[41:42], v[41:42], v[43:44]
	v_ldexp_f64 v[43:44], v[71:72], 2
	s_delay_alu instid0(VALU_DEP_2) | instskip(NEXT) | instid1(VALU_DEP_2)
	v_add_f64 v[41:42], v[63:64], v[41:42]
	v_add_f64 v[63:64], v[67:68], v[43:44]
	s_delay_alu instid0(VALU_DEP_1) | instskip(SKIP_2) | instid1(VALU_DEP_1)
	v_cmp_gt_f64_e32 vcc_lo, 0, v[63:64]
	v_mov_b32_e32 v63, 0
	v_cndmask_b32_e64 v64, 0, 0x40100000, vcc_lo
	v_add_f64 v[43:44], v[43:44], v[63:64]
	s_delay_alu instid0(VALU_DEP_1) | instskip(NEXT) | instid1(VALU_DEP_1)
	v_add_f64 v[64:65], v[67:68], v[43:44]
	v_cvt_i32_f64_e32 v69, v[64:65]
	s_delay_alu instid0(VALU_DEP_1) | instskip(NEXT) | instid1(VALU_DEP_1)
	v_cvt_f64_i32_e32 v[64:65], v69
	v_add_f64 v[43:44], v[43:44], -v[64:65]
	s_delay_alu instid0(VALU_DEP_1) | instskip(NEXT) | instid1(VALU_DEP_1)
	v_add_f64 v[65:66], v[67:68], v[43:44]
	v_add_f64 v[43:44], v[65:66], -v[43:44]
	v_cmp_le_f64_e32 vcc_lo, 0.5, v[65:66]
	s_delay_alu instid0(VALU_DEP_2) | instskip(SKIP_2) | instid1(VALU_DEP_3)
	v_add_f64 v[43:44], v[67:68], -v[43:44]
	v_cndmask_b32_e64 v64, 0, 0x3ff00000, vcc_lo
	v_add_co_ci_u32_e64 v87, s5, 0, v69, vcc_lo
	v_add_f64 v[41:42], v[41:42], v[43:44]
	s_delay_alu instid0(VALU_DEP_3) | instskip(NEXT) | instid1(VALU_DEP_1)
	v_add_f64 v[43:44], v[65:66], -v[63:64]
	v_add_f64 v[63:64], v[43:44], v[41:42]
	s_delay_alu instid0(VALU_DEP_1) | instskip(NEXT) | instid1(VALU_DEP_1)
	v_add_f64 v[43:44], v[63:64], -v[43:44]
	v_add_f64 v[41:42], v[41:42], -v[43:44]
	v_mul_f64 v[43:44], v[63:64], s[14:15]
	s_delay_alu instid0(VALU_DEP_1) | instskip(NEXT) | instid1(VALU_DEP_1)
	v_fma_f64 v[65:66], v[63:64], s[14:15], -v[43:44]
	v_fma_f64 v[63:64], v[63:64], s[18:19], v[65:66]
	s_delay_alu instid0(VALU_DEP_1) | instskip(NEXT) | instid1(VALU_DEP_1)
	v_fma_f64 v[63:64], v[41:42], s[14:15], v[63:64]
	v_add_f64 v[41:42], v[43:44], v[63:64]
	s_delay_alu instid0(VALU_DEP_1) | instskip(NEXT) | instid1(VALU_DEP_1)
	v_add_f64 v[43:44], v[41:42], -v[43:44]
	v_add_f64 v[43:44], v[63:64], -v[43:44]
	s_and_not1_saveexec_b32 s5, s10
	s_cbranch_execnz .LBB1_49
.LBB1_46:
	s_or_b32 exec_lo, exec_lo, s5
	s_delay_alu instid0(SALU_CYCLE_1)
	s_and_b32 vcc_lo, exec_lo, s24
	s_cbranch_vccz .LBB1_50
.LBB1_47:
	v_cmp_le_f64_e64 vcc_lo, 0x7b000000, |s[6:7]|
	s_and_b32 s5, s7, 0x7fffffff
	s_mov_b32 s10, 0
	s_mov_b32 s14, 0x54442d18
	;; [unrolled: 1-line block ×5, first 2 shown]
	v_cndmask_b32_e32 v64, s5, v13, vcc_lo
	v_cndmask_b32_e32 v63, s6, v12, vcc_lo
	s_delay_alu instid0(VALU_DEP_1) | instskip(SKIP_2) | instid1(VALU_DEP_3)
	v_mul_f64 v[65:66], v[10:11], v[63:64]
	v_mul_f64 v[67:68], v[8:9], v[63:64]
	;; [unrolled: 1-line block ×3, first 2 shown]
	v_fma_f64 v[69:70], v[10:11], v[63:64], -v[65:66]
	s_delay_alu instid0(VALU_DEP_3) | instskip(NEXT) | instid1(VALU_DEP_3)
	v_fma_f64 v[94:95], v[8:9], v[63:64], -v[67:68]
	v_fma_f64 v[63:64], v[6:7], v[63:64], -v[92:93]
	s_delay_alu instid0(VALU_DEP_3) | instskip(NEXT) | instid1(VALU_DEP_1)
	v_add_f64 v[71:72], v[67:68], v[69:70]
	v_add_f64 v[73:74], v[71:72], -v[67:68]
	v_add_f64 v[81:82], v[65:66], v[71:72]
	s_delay_alu instid0(VALU_DEP_2) | instskip(SKIP_1) | instid1(VALU_DEP_3)
	v_add_f64 v[79:80], v[71:72], -v[73:74]
	v_add_f64 v[69:70], v[69:70], -v[73:74]
	v_ldexp_f64 v[73:74], v[81:82], -2
	v_add_f64 v[65:66], v[81:82], -v[65:66]
	s_delay_alu instid0(VALU_DEP_4) | instskip(SKIP_1) | instid1(VALU_DEP_4)
	v_add_f64 v[67:68], v[67:68], -v[79:80]
	v_add_f64 v[79:80], v[92:93], v[94:95]
	v_cmp_neq_f64_e64 vcc_lo, 0x7ff00000, |v[73:74]|
	s_delay_alu instid0(VALU_DEP_4) | instskip(NEXT) | instid1(VALU_DEP_4)
	v_add_f64 v[65:66], v[71:72], -v[65:66]
	v_add_f64 v[67:68], v[69:70], v[67:68]
	v_fract_f64_e32 v[69:70], v[73:74]
	s_delay_alu instid0(VALU_DEP_2) | instskip(NEXT) | instid1(VALU_DEP_2)
	v_add_f64 v[71:72], v[79:80], v[67:68]
	v_dual_cndmask_b32 v70, 0, v70 :: v_dual_cndmask_b32 v69, 0, v69
	s_delay_alu instid0(VALU_DEP_1) | instskip(NEXT) | instid1(VALU_DEP_3)
	v_ldexp_f64 v[69:70], v[69:70], 2
	v_add_f64 v[73:74], v[65:66], v[71:72]
	v_add_f64 v[96:97], v[71:72], -v[79:80]
	s_delay_alu instid0(VALU_DEP_2) | instskip(NEXT) | instid1(VALU_DEP_2)
	v_add_f64 v[81:82], v[73:74], v[69:70]
	v_add_f64 v[102:103], v[71:72], -v[96:97]
	v_add_f64 v[67:68], v[67:68], -v[96:97]
	;; [unrolled: 1-line block ×3, first 2 shown]
	s_delay_alu instid0(VALU_DEP_4) | instskip(SKIP_1) | instid1(VALU_DEP_3)
	v_cmp_gt_f64_e32 vcc_lo, 0, v[81:82]
	v_add_f64 v[81:82], v[79:80], -v[92:93]
	v_add_f64 v[65:66], v[71:72], -v[65:66]
	s_and_b32 s5, vcc_lo, exec_lo
	s_cselect_b32 s11, 0x40100000, 0
	s_delay_alu instid0(VALU_DEP_2) | instskip(SKIP_3) | instid1(VALU_DEP_4)
	v_add_f64 v[100:101], v[79:80], -v[81:82]
	v_add_f64 v[69:70], v[69:70], s[10:11]
	v_add_f64 v[81:82], v[94:95], -v[81:82]
	v_add_f64 v[79:80], v[79:80], -v[102:103]
	;; [unrolled: 1-line block ×3, first 2 shown]
	s_delay_alu instid0(VALU_DEP_4) | instskip(NEXT) | instid1(VALU_DEP_3)
	v_add_f64 v[98:99], v[73:74], v[69:70]
	v_add_f64 v[67:68], v[67:68], v[79:80]
	s_delay_alu instid0(VALU_DEP_3) | instskip(NEXT) | instid1(VALU_DEP_3)
	v_add_f64 v[81:82], v[81:82], v[94:95]
	v_cvt_i32_f64_e32 v98, v[98:99]
	s_delay_alu instid0(VALU_DEP_2) | instskip(NEXT) | instid1(VALU_DEP_2)
	v_add_f64 v[67:68], v[81:82], v[67:68]
	v_cvt_f64_i32_e32 v[96:97], v98
	s_delay_alu instid0(VALU_DEP_2) | instskip(NEXT) | instid1(VALU_DEP_2)
	v_add_f64 v[63:64], v[63:64], v[67:68]
	v_add_f64 v[69:70], v[69:70], -v[96:97]
	s_delay_alu instid0(VALU_DEP_2) | instskip(NEXT) | instid1(VALU_DEP_2)
	v_add_f64 v[63:64], v[65:66], v[63:64]
	v_add_f64 v[79:80], v[73:74], v[69:70]
	s_delay_alu instid0(VALU_DEP_1) | instskip(SKIP_1) | instid1(VALU_DEP_2)
	v_add_f64 v[67:68], v[79:80], -v[69:70]
	v_cmp_le_f64_e32 vcc_lo, 0.5, v[79:80]
	v_add_f64 v[65:66], v[73:74], -v[67:68]
	s_and_b32 s5, vcc_lo, exec_lo
	s_cselect_b32 s11, 0x3ff00000, 0
	v_add_co_ci_u32_e64 v94, s5, 0, v98, vcc_lo
	s_delay_alu instid0(VALU_DEP_2) | instskip(SKIP_1) | instid1(VALU_DEP_1)
	v_add_f64 v[63:64], v[63:64], v[65:66]
	v_add_f64 v[65:66], v[79:80], -s[10:11]
	v_add_f64 v[67:68], v[65:66], v[63:64]
	s_delay_alu instid0(VALU_DEP_1) | instskip(SKIP_1) | instid1(VALU_DEP_2)
	v_mul_f64 v[69:70], v[67:68], s[14:15]
	v_add_f64 v[65:66], v[67:68], -v[65:66]
	v_fma_f64 v[71:72], v[67:68], s[14:15], -v[69:70]
	s_delay_alu instid0(VALU_DEP_2) | instskip(NEXT) | instid1(VALU_DEP_2)
	v_add_f64 v[63:64], v[63:64], -v[65:66]
	v_fma_f64 v[65:66], v[67:68], s[18:19], v[71:72]
	s_delay_alu instid0(VALU_DEP_1) | instskip(NEXT) | instid1(VALU_DEP_1)
	v_fma_f64 v[63:64], v[63:64], s[14:15], v[65:66]
	v_add_f64 v[71:72], v[69:70], v[63:64]
	s_delay_alu instid0(VALU_DEP_1) | instskip(NEXT) | instid1(VALU_DEP_1)
	v_add_f64 v[65:66], v[71:72], -v[69:70]
	v_add_f64 v[73:74], v[63:64], -v[65:66]
	s_cbranch_execz .LBB1_51
	s_branch .LBB1_52
.LBB1_48:
	s_and_not1_saveexec_b32 s5, s10
	s_cbranch_execz .LBB1_46
.LBB1_49:
	s_mov_b32 s10, 0x6dc9c883
	s_mov_b32 s11, 0x3fe45f30
	;; [unrolled: 1-line block ×3, first 2 shown]
	v_mul_f64 v[41:42], |v[4:5]|, s[10:11]
	s_mov_b32 s10, 0x54442d18
	s_mov_b32 s11, 0xbff921fb
	;; [unrolled: 1-line block ×3, first 2 shown]
	s_delay_alu instid0(VALU_DEP_1) | instskip(NEXT) | instid1(VALU_DEP_1)
	v_rndne_f64_e32 v[63:64], v[41:42]
	v_fma_f64 v[41:42], v[63:64], s[10:11], |v[4:5]|
	v_mul_f64 v[43:44], v[63:64], s[14:15]
	s_mov_b32 s10, 0x252049c0
	s_mov_b32 s11, 0xb97b839a
	v_cvt_i32_f64_e32 v87, v[63:64]
	s_delay_alu instid0(VALU_DEP_3) | instskip(NEXT) | instid1(VALU_DEP_3)
	v_fma_f64 v[67:68], v[63:64], s[14:15], v[41:42]
	v_add_f64 v[65:66], v[41:42], v[43:44]
	s_mov_b32 s15, 0x3c91a626
	s_delay_alu instid0(VALU_DEP_1) | instskip(NEXT) | instid1(VALU_DEP_3)
	v_add_f64 v[41:42], v[41:42], -v[65:66]
	v_add_f64 v[65:66], v[65:66], -v[67:68]
	s_delay_alu instid0(VALU_DEP_2) | instskip(SKIP_1) | instid1(VALU_DEP_2)
	v_add_f64 v[41:42], v[41:42], v[43:44]
	v_fma_f64 v[43:44], v[63:64], s[14:15], v[43:44]
	v_add_f64 v[41:42], v[65:66], v[41:42]
	s_delay_alu instid0(VALU_DEP_1) | instskip(NEXT) | instid1(VALU_DEP_1)
	v_add_f64 v[41:42], v[41:42], -v[43:44]
	v_fma_f64 v[43:44], v[63:64], s[10:11], v[41:42]
	s_delay_alu instid0(VALU_DEP_1) | instskip(NEXT) | instid1(VALU_DEP_1)
	v_add_f64 v[41:42], v[67:68], v[43:44]
	v_add_f64 v[65:66], v[41:42], -v[67:68]
	s_delay_alu instid0(VALU_DEP_1) | instskip(SKIP_1) | instid1(SALU_CYCLE_1)
	v_add_f64 v[43:44], v[43:44], -v[65:66]
	s_or_b32 exec_lo, exec_lo, s5
	s_and_b32 vcc_lo, exec_lo, s24
	s_cbranch_vccnz .LBB1_47
.LBB1_50:
                                        ; implicit-def: $vgpr94
                                        ; implicit-def: $vgpr71_vgpr72
                                        ; implicit-def: $vgpr73_vgpr74
.LBB1_51:
	s_mov_b32 s10, 0x6dc9c883
	s_mov_b32 s11, 0x3fe45f30
	;; [unrolled: 1-line block ×3, first 2 shown]
	v_mul_f64 v[63:64], |s[6:7]|, s[10:11]
	s_mov_b32 s10, 0x54442d18
	s_mov_b32 s11, 0xbff921fb
	;; [unrolled: 1-line block ×3, first 2 shown]
	s_delay_alu instid0(VALU_DEP_1) | instskip(NEXT) | instid1(VALU_DEP_1)
	v_rndne_f64_e32 v[63:64], v[63:64]
	v_fma_f64 v[65:66], v[63:64], s[10:11], |s[6:7]|
	v_mul_f64 v[67:68], v[63:64], s[14:15]
	s_mov_b32 s10, 0x252049c0
	s_mov_b32 s11, 0xb97b839a
	v_cvt_i32_f64_e32 v94, v[63:64]
	s_delay_alu instid0(VALU_DEP_3) | instskip(NEXT) | instid1(VALU_DEP_3)
	v_fma_f64 v[73:74], v[63:64], s[14:15], v[65:66]
	v_add_f64 v[69:70], v[65:66], v[67:68]
	s_mov_b32 s15, 0x3c91a626
	s_delay_alu instid0(VALU_DEP_1) | instskip(NEXT) | instid1(VALU_DEP_3)
	v_add_f64 v[65:66], v[65:66], -v[69:70]
	v_add_f64 v[69:70], v[69:70], -v[73:74]
	s_delay_alu instid0(VALU_DEP_2) | instskip(SKIP_1) | instid1(VALU_DEP_2)
	v_add_f64 v[65:66], v[65:66], v[67:68]
	v_fma_f64 v[67:68], v[63:64], s[14:15], v[67:68]
	v_add_f64 v[65:66], v[69:70], v[65:66]
	s_delay_alu instid0(VALU_DEP_1) | instskip(NEXT) | instid1(VALU_DEP_1)
	v_add_f64 v[65:66], v[65:66], -v[67:68]
	v_fma_f64 v[65:66], v[63:64], s[10:11], v[65:66]
	s_delay_alu instid0(VALU_DEP_1) | instskip(NEXT) | instid1(VALU_DEP_1)
	v_add_f64 v[71:72], v[73:74], v[65:66]
	v_add_f64 v[67:68], v[71:72], -v[73:74]
	s_delay_alu instid0(VALU_DEP_1)
	v_add_f64 v[73:74], v[65:66], -v[67:68]
.LBB1_52:
                                        ; implicit-def: $vgpr93
                                        ; implicit-def: $vgpr67_vgpr68
                                        ; implicit-def: $vgpr69_vgpr70
	s_and_saveexec_b32 s5, s12
	s_delay_alu instid0(SALU_CYCLE_1)
	s_xor_b32 s10, exec_lo, s5
	s_cbranch_execz .LBB1_54
; %bb.53:
	v_cmp_le_f64_e64 vcc_lo, 0x7b000000, |v[4:5]|
	v_mov_b32_e32 v101, 0
	s_mov_b32 s14, 0x54442d18
	s_mov_b32 s15, 0x3ff921fb
	;; [unrolled: 1-line block ×4, first 2 shown]
	v_dual_cndmask_b32 v64, v89, v56 :: v_dual_cndmask_b32 v63, v4, v55
	s_delay_alu instid0(VALU_DEP_1) | instskip(SKIP_2) | instid1(VALU_DEP_3)
	v_mul_f64 v[65:66], v[53:54], v[63:64]
	v_mul_f64 v[67:68], v[51:52], v[63:64]
	;; [unrolled: 1-line block ×3, first 2 shown]
	v_fma_f64 v[69:70], v[53:54], v[63:64], -v[65:66]
	s_delay_alu instid0(VALU_DEP_3) | instskip(NEXT) | instid1(VALU_DEP_3)
	v_fma_f64 v[99:100], v[51:52], v[63:64], -v[67:68]
	v_fma_f64 v[63:64], v[45:46], v[63:64], -v[97:98]
	s_delay_alu instid0(VALU_DEP_3) | instskip(NEXT) | instid1(VALU_DEP_1)
	v_add_f64 v[79:80], v[67:68], v[69:70]
	v_add_f64 v[81:82], v[79:80], -v[67:68]
	v_add_f64 v[95:96], v[65:66], v[79:80]
	s_delay_alu instid0(VALU_DEP_2) | instskip(SKIP_1) | instid1(VALU_DEP_3)
	v_add_f64 v[92:93], v[79:80], -v[81:82]
	v_add_f64 v[69:70], v[69:70], -v[81:82]
	v_ldexp_f64 v[81:82], v[95:96], -2
	v_add_f64 v[65:66], v[95:96], -v[65:66]
	s_delay_alu instid0(VALU_DEP_4) | instskip(SKIP_1) | instid1(VALU_DEP_4)
	v_add_f64 v[67:68], v[67:68], -v[92:93]
	v_add_f64 v[92:93], v[97:98], v[99:100]
	v_cmp_neq_f64_e64 vcc_lo, 0x7ff00000, |v[81:82]|
	s_delay_alu instid0(VALU_DEP_4) | instskip(NEXT) | instid1(VALU_DEP_4)
	v_add_f64 v[65:66], v[79:80], -v[65:66]
	v_add_f64 v[67:68], v[69:70], v[67:68]
	v_fract_f64_e32 v[69:70], v[81:82]
	s_delay_alu instid0(VALU_DEP_2) | instskip(NEXT) | instid1(VALU_DEP_2)
	v_add_f64 v[79:80], v[92:93], v[67:68]
	v_dual_cndmask_b32 v70, 0, v70 :: v_dual_cndmask_b32 v69, 0, v69
	s_delay_alu instid0(VALU_DEP_1) | instskip(NEXT) | instid1(VALU_DEP_3)
	v_ldexp_f64 v[69:70], v[69:70], 2
	v_add_f64 v[81:82], v[65:66], v[79:80]
	s_delay_alu instid0(VALU_DEP_1) | instskip(SKIP_1) | instid1(VALU_DEP_2)
	v_add_f64 v[95:96], v[81:82], v[69:70]
	v_add_f64 v[65:66], v[81:82], -v[65:66]
	v_cmp_gt_f64_e32 vcc_lo, 0, v[95:96]
	v_add_f64 v[95:96], v[92:93], -v[97:98]
	s_delay_alu instid0(VALU_DEP_3) | instskip(SKIP_1) | instid1(VALU_DEP_3)
	v_add_f64 v[65:66], v[79:80], -v[65:66]
	v_cndmask_b32_e64 v102, 0, 0x40100000, vcc_lo
	v_add_f64 v[106:107], v[92:93], -v[95:96]
	v_add_f64 v[95:96], v[99:100], -v[95:96]
	s_delay_alu instid0(VALU_DEP_3) | instskip(SKIP_1) | instid1(VALU_DEP_4)
	v_add_f64 v[69:70], v[69:70], v[101:102]
	v_add_f64 v[102:103], v[79:80], -v[92:93]
	v_add_f64 v[99:100], v[97:98], -v[106:107]
	s_delay_alu instid0(VALU_DEP_3) | instskip(NEXT) | instid1(VALU_DEP_3)
	v_add_f64 v[104:105], v[81:82], v[69:70]
	v_add_f64 v[108:109], v[79:80], -v[102:103]
	v_add_f64 v[67:68], v[67:68], -v[102:103]
	s_delay_alu instid0(VALU_DEP_4) | instskip(NEXT) | instid1(VALU_DEP_4)
	v_add_f64 v[95:96], v[95:96], v[99:100]
	v_cvt_i32_f64_e32 v104, v[104:105]
	s_delay_alu instid0(VALU_DEP_4) | instskip(NEXT) | instid1(VALU_DEP_2)
	v_add_f64 v[92:93], v[92:93], -v[108:109]
	v_cvt_f64_i32_e32 v[102:103], v104
	s_delay_alu instid0(VALU_DEP_2) | instskip(NEXT) | instid1(VALU_DEP_2)
	v_add_f64 v[67:68], v[67:68], v[92:93]
	v_add_f64 v[69:70], v[69:70], -v[102:103]
	s_delay_alu instid0(VALU_DEP_2) | instskip(NEXT) | instid1(VALU_DEP_2)
	v_add_f64 v[67:68], v[95:96], v[67:68]
	v_add_f64 v[95:96], v[81:82], v[69:70]
	s_delay_alu instid0(VALU_DEP_2) | instskip(NEXT) | instid1(VALU_DEP_2)
	v_add_f64 v[63:64], v[63:64], v[67:68]
	v_add_f64 v[67:68], v[95:96], -v[69:70]
	v_cmp_le_f64_e32 vcc_lo, 0.5, v[95:96]
	s_delay_alu instid0(VALU_DEP_3) | instskip(NEXT) | instid1(VALU_DEP_3)
	v_add_f64 v[63:64], v[65:66], v[63:64]
	v_add_f64 v[65:66], v[81:82], -v[67:68]
	v_cndmask_b32_e64 v102, 0, 0x3ff00000, vcc_lo
	v_add_co_ci_u32_e64 v93, s5, 0, v104, vcc_lo
	s_delay_alu instid0(VALU_DEP_3) | instskip(NEXT) | instid1(VALU_DEP_3)
	v_add_f64 v[63:64], v[63:64], v[65:66]
	v_add_f64 v[65:66], v[95:96], -v[101:102]
	s_delay_alu instid0(VALU_DEP_1) | instskip(NEXT) | instid1(VALU_DEP_1)
	v_add_f64 v[67:68], v[65:66], v[63:64]
	v_mul_f64 v[69:70], v[67:68], s[14:15]
	v_add_f64 v[65:66], v[67:68], -v[65:66]
	s_delay_alu instid0(VALU_DEP_2) | instskip(NEXT) | instid1(VALU_DEP_2)
	v_fma_f64 v[79:80], v[67:68], s[14:15], -v[69:70]
	v_add_f64 v[63:64], v[63:64], -v[65:66]
	s_delay_alu instid0(VALU_DEP_2) | instskip(NEXT) | instid1(VALU_DEP_1)
	v_fma_f64 v[65:66], v[67:68], s[18:19], v[79:80]
	v_fma_f64 v[63:64], v[63:64], s[14:15], v[65:66]
	s_delay_alu instid0(VALU_DEP_1) | instskip(NEXT) | instid1(VALU_DEP_1)
	v_add_f64 v[67:68], v[69:70], v[63:64]
	v_add_f64 v[65:66], v[67:68], -v[69:70]
	s_delay_alu instid0(VALU_DEP_1)
	v_add_f64 v[69:70], v[63:64], -v[65:66]
	s_and_not1_saveexec_b32 s5, s10
	s_cbranch_execz .LBB1_56
	s_branch .LBB1_55
.LBB1_54:
	s_and_not1_saveexec_b32 s5, s10
	s_cbranch_execz .LBB1_56
.LBB1_55:
	s_mov_b32 s10, 0x6dc9c883
	s_mov_b32 s11, 0x3fe45f30
	;; [unrolled: 1-line block ×3, first 2 shown]
	v_mul_f64 v[63:64], |v[4:5]|, s[10:11]
	s_mov_b32 s10, 0x54442d18
	s_mov_b32 s11, 0xbff921fb
	;; [unrolled: 1-line block ×3, first 2 shown]
	s_delay_alu instid0(VALU_DEP_1) | instskip(NEXT) | instid1(VALU_DEP_1)
	v_rndne_f64_e32 v[63:64], v[63:64]
	v_fma_f64 v[65:66], v[63:64], s[10:11], |v[4:5]|
	v_mul_f64 v[67:68], v[63:64], s[14:15]
	s_mov_b32 s10, 0x252049c0
	s_mov_b32 s11, 0xb97b839a
	v_cvt_i32_f64_e32 v93, v[63:64]
	s_delay_alu instid0(VALU_DEP_3) | instskip(NEXT) | instid1(VALU_DEP_3)
	v_fma_f64 v[79:80], v[63:64], s[14:15], v[65:66]
	v_add_f64 v[69:70], v[65:66], v[67:68]
	s_mov_b32 s15, 0x3c91a626
	s_delay_alu instid0(VALU_DEP_1) | instskip(NEXT) | instid1(VALU_DEP_3)
	v_add_f64 v[65:66], v[65:66], -v[69:70]
	v_add_f64 v[69:70], v[69:70], -v[79:80]
	s_delay_alu instid0(VALU_DEP_2) | instskip(SKIP_1) | instid1(VALU_DEP_2)
	v_add_f64 v[65:66], v[65:66], v[67:68]
	v_fma_f64 v[67:68], v[63:64], s[14:15], v[67:68]
	v_add_f64 v[65:66], v[69:70], v[65:66]
	s_delay_alu instid0(VALU_DEP_1) | instskip(NEXT) | instid1(VALU_DEP_1)
	v_add_f64 v[65:66], v[65:66], -v[67:68]
	v_fma_f64 v[65:66], v[63:64], s[10:11], v[65:66]
	s_delay_alu instid0(VALU_DEP_1) | instskip(NEXT) | instid1(VALU_DEP_1)
	v_add_f64 v[67:68], v[79:80], v[65:66]
	v_add_f64 v[69:70], v[67:68], -v[79:80]
	s_delay_alu instid0(VALU_DEP_1)
	v_add_f64 v[69:70], v[65:66], -v[69:70]
.LBB1_56:
	s_or_b32 exec_lo, exec_lo, s5
                                        ; implicit-def: $vgpr92
                                        ; implicit-def: $vgpr63_vgpr64
                                        ; implicit-def: $vgpr65_vgpr66
	s_and_saveexec_b32 s5, s12
	s_delay_alu instid0(SALU_CYCLE_1)
	s_xor_b32 s10, exec_lo, s5
	s_cbranch_execz .LBB1_60
; %bb.57:
	v_cmp_le_f64_e64 vcc_lo, 0x7b000000, |v[4:5]|
	v_mov_b32_e32 v107, 0
	s_mov_b32 s14, 0x54442d18
	s_mov_b32 s15, 0x3ff921fb
	s_mov_b32 s18, 0x33145c07
	s_mov_b32 s19, 0x3c91a626
	v_dual_cndmask_b32 v64, v89, v56 :: v_dual_cndmask_b32 v63, v4, v55
	s_delay_alu instid0(VALU_DEP_1) | instskip(SKIP_2) | instid1(VALU_DEP_3)
	v_mul_f64 v[65:66], v[53:54], v[63:64]
	v_mul_f64 v[79:80], v[51:52], v[63:64]
	;; [unrolled: 1-line block ×3, first 2 shown]
	v_fma_f64 v[81:82], v[53:54], v[63:64], -v[65:66]
	s_delay_alu instid0(VALU_DEP_3) | instskip(NEXT) | instid1(VALU_DEP_3)
	v_fma_f64 v[105:106], v[51:52], v[63:64], -v[79:80]
	v_fma_f64 v[63:64], v[45:46], v[63:64], -v[103:104]
	s_delay_alu instid0(VALU_DEP_3) | instskip(NEXT) | instid1(VALU_DEP_1)
	v_add_f64 v[95:96], v[79:80], v[81:82]
	v_add_f64 v[97:98], v[95:96], -v[79:80]
	v_add_f64 v[101:102], v[65:66], v[95:96]
	s_delay_alu instid0(VALU_DEP_2) | instskip(SKIP_1) | instid1(VALU_DEP_3)
	v_add_f64 v[99:100], v[95:96], -v[97:98]
	v_add_f64 v[81:82], v[81:82], -v[97:98]
	v_ldexp_f64 v[97:98], v[101:102], -2
	v_add_f64 v[65:66], v[101:102], -v[65:66]
	s_delay_alu instid0(VALU_DEP_4) | instskip(SKIP_1) | instid1(VALU_DEP_4)
	v_add_f64 v[79:80], v[79:80], -v[99:100]
	v_add_f64 v[99:100], v[103:104], v[105:106]
	v_cmp_neq_f64_e64 vcc_lo, 0x7ff00000, |v[97:98]|
	s_delay_alu instid0(VALU_DEP_4) | instskip(NEXT) | instid1(VALU_DEP_4)
	v_add_f64 v[65:66], v[95:96], -v[65:66]
	v_add_f64 v[79:80], v[81:82], v[79:80]
	v_fract_f64_e32 v[81:82], v[97:98]
	s_delay_alu instid0(VALU_DEP_2) | instskip(NEXT) | instid1(VALU_DEP_2)
	v_add_f64 v[95:96], v[99:100], v[79:80]
	v_dual_cndmask_b32 v82, 0, v82 :: v_dual_cndmask_b32 v81, 0, v81
	s_delay_alu instid0(VALU_DEP_1) | instskip(NEXT) | instid1(VALU_DEP_3)
	v_ldexp_f64 v[81:82], v[81:82], 2
	v_add_f64 v[97:98], v[65:66], v[95:96]
	s_delay_alu instid0(VALU_DEP_1) | instskip(SKIP_1) | instid1(VALU_DEP_2)
	v_add_f64 v[101:102], v[97:98], v[81:82]
	v_add_f64 v[65:66], v[97:98], -v[65:66]
	v_cmp_gt_f64_e32 vcc_lo, 0, v[101:102]
	v_add_f64 v[101:102], v[99:100], -v[103:104]
	s_delay_alu instid0(VALU_DEP_3) | instskip(SKIP_1) | instid1(VALU_DEP_3)
	v_add_f64 v[65:66], v[95:96], -v[65:66]
	v_cndmask_b32_e64 v108, 0, 0x40100000, vcc_lo
	v_add_f64 v[112:113], v[99:100], -v[101:102]
	v_add_f64 v[101:102], v[105:106], -v[101:102]
	s_delay_alu instid0(VALU_DEP_3) | instskip(SKIP_1) | instid1(VALU_DEP_4)
	v_add_f64 v[81:82], v[81:82], v[107:108]
	v_add_f64 v[108:109], v[95:96], -v[99:100]
	v_add_f64 v[105:106], v[103:104], -v[112:113]
	s_delay_alu instid0(VALU_DEP_3) | instskip(NEXT) | instid1(VALU_DEP_3)
	v_add_f64 v[110:111], v[97:98], v[81:82]
	v_add_f64 v[114:115], v[95:96], -v[108:109]
	v_add_f64 v[79:80], v[79:80], -v[108:109]
	s_delay_alu instid0(VALU_DEP_4) | instskip(NEXT) | instid1(VALU_DEP_4)
	v_add_f64 v[101:102], v[101:102], v[105:106]
	v_cvt_i32_f64_e32 v92, v[110:111]
	s_delay_alu instid0(VALU_DEP_4) | instskip(NEXT) | instid1(VALU_DEP_2)
	v_add_f64 v[99:100], v[99:100], -v[114:115]
	v_cvt_f64_i32_e32 v[108:109], v92
	s_delay_alu instid0(VALU_DEP_2) | instskip(NEXT) | instid1(VALU_DEP_2)
	v_add_f64 v[79:80], v[79:80], v[99:100]
	v_add_f64 v[81:82], v[81:82], -v[108:109]
	s_delay_alu instid0(VALU_DEP_2) | instskip(NEXT) | instid1(VALU_DEP_2)
	v_add_f64 v[79:80], v[101:102], v[79:80]
	v_add_f64 v[99:100], v[97:98], v[81:82]
	s_delay_alu instid0(VALU_DEP_2) | instskip(NEXT) | instid1(VALU_DEP_2)
	v_add_f64 v[63:64], v[63:64], v[79:80]
	v_add_f64 v[79:80], v[99:100], -v[81:82]
	v_cmp_le_f64_e32 vcc_lo, 0.5, v[99:100]
	s_delay_alu instid0(VALU_DEP_3) | instskip(NEXT) | instid1(VALU_DEP_3)
	v_add_f64 v[63:64], v[65:66], v[63:64]
	v_add_f64 v[65:66], v[97:98], -v[79:80]
	v_cndmask_b32_e64 v108, 0, 0x3ff00000, vcc_lo
	v_add_co_ci_u32_e64 v92, s5, 0, v92, vcc_lo
	s_delay_alu instid0(VALU_DEP_3) | instskip(NEXT) | instid1(VALU_DEP_3)
	v_add_f64 v[63:64], v[63:64], v[65:66]
	v_add_f64 v[65:66], v[99:100], -v[107:108]
	s_delay_alu instid0(VALU_DEP_1) | instskip(NEXT) | instid1(VALU_DEP_1)
	v_add_f64 v[79:80], v[65:66], v[63:64]
	v_mul_f64 v[81:82], v[79:80], s[14:15]
	v_add_f64 v[65:66], v[79:80], -v[65:66]
	s_delay_alu instid0(VALU_DEP_2) | instskip(NEXT) | instid1(VALU_DEP_2)
	v_fma_f64 v[95:96], v[79:80], s[14:15], -v[81:82]
	v_add_f64 v[63:64], v[63:64], -v[65:66]
	s_delay_alu instid0(VALU_DEP_2) | instskip(NEXT) | instid1(VALU_DEP_1)
	v_fma_f64 v[65:66], v[79:80], s[18:19], v[95:96]
	v_fma_f64 v[65:66], v[63:64], s[14:15], v[65:66]
	s_delay_alu instid0(VALU_DEP_1) | instskip(NEXT) | instid1(VALU_DEP_1)
	v_add_f64 v[63:64], v[81:82], v[65:66]
	v_add_f64 v[79:80], v[63:64], -v[81:82]
	s_delay_alu instid0(VALU_DEP_1)
	v_add_f64 v[65:66], v[65:66], -v[79:80]
	s_and_not1_saveexec_b32 s5, s10
	s_cbranch_execnz .LBB1_61
.LBB1_58:
	s_or_b32 exec_lo, exec_lo, s5
	s_delay_alu instid0(SALU_CYCLE_1)
	s_and_b32 vcc_lo, exec_lo, s24
	s_cbranch_vccz .LBB1_62
.LBB1_59:
	v_cmp_le_f64_e64 vcc_lo, 0x7b000000, |s[6:7]|
	s_and_b32 s5, s7, 0x7fffffff
	s_mov_b32 s10, 0
	s_mov_b32 s14, 0x54442d18
	;; [unrolled: 1-line block ×5, first 2 shown]
	v_cndmask_b32_e32 v13, s5, v13, vcc_lo
	v_cndmask_b32_e32 v12, s6, v12, vcc_lo
	s_delay_alu instid0(VALU_DEP_1) | instskip(SKIP_2) | instid1(VALU_DEP_3)
	v_mul_f64 v[79:80], v[10:11], v[12:13]
	v_mul_f64 v[81:82], v[8:9], v[12:13]
	;; [unrolled: 1-line block ×3, first 2 shown]
	v_fma_f64 v[10:11], v[10:11], v[12:13], -v[79:80]
	s_delay_alu instid0(VALU_DEP_3) | instskip(NEXT) | instid1(VALU_DEP_3)
	v_fma_f64 v[8:9], v[8:9], v[12:13], -v[81:82]
	v_fma_f64 v[6:7], v[6:7], v[12:13], -v[103:104]
	s_delay_alu instid0(VALU_DEP_3) | instskip(NEXT) | instid1(VALU_DEP_1)
	v_add_f64 v[95:96], v[81:82], v[10:11]
	v_add_f64 v[97:98], v[95:96], -v[81:82]
	v_add_f64 v[101:102], v[79:80], v[95:96]
	s_delay_alu instid0(VALU_DEP_2) | instskip(SKIP_1) | instid1(VALU_DEP_3)
	v_add_f64 v[99:100], v[95:96], -v[97:98]
	v_add_f64 v[10:11], v[10:11], -v[97:98]
	v_ldexp_f64 v[97:98], v[101:102], -2
	v_add_f64 v[79:80], v[101:102], -v[79:80]
	s_delay_alu instid0(VALU_DEP_4) | instskip(SKIP_1) | instid1(VALU_DEP_4)
	v_add_f64 v[81:82], v[81:82], -v[99:100]
	v_add_f64 v[99:100], v[103:104], v[8:9]
	v_cmp_neq_f64_e64 vcc_lo, 0x7ff00000, |v[97:98]|
	s_delay_alu instid0(VALU_DEP_4) | instskip(NEXT) | instid1(VALU_DEP_4)
	v_add_f64 v[79:80], v[95:96], -v[79:80]
	v_add_f64 v[10:11], v[10:11], v[81:82]
	v_fract_f64_e32 v[81:82], v[97:98]
	s_delay_alu instid0(VALU_DEP_2) | instskip(NEXT) | instid1(VALU_DEP_2)
	v_add_f64 v[95:96], v[99:100], v[10:11]
	v_dual_cndmask_b32 v82, 0, v82 :: v_dual_cndmask_b32 v81, 0, v81
	s_delay_alu instid0(VALU_DEP_1) | instskip(NEXT) | instid1(VALU_DEP_3)
	v_ldexp_f64 v[81:82], v[81:82], 2
	v_add_f64 v[97:98], v[79:80], v[95:96]
	v_add_f64 v[105:106], v[95:96], -v[99:100]
	s_delay_alu instid0(VALU_DEP_2) | instskip(NEXT) | instid1(VALU_DEP_2)
	v_add_f64 v[101:102], v[97:98], v[81:82]
	v_add_f64 v[111:112], v[95:96], -v[105:106]
	v_add_f64 v[10:11], v[10:11], -v[105:106]
	;; [unrolled: 1-line block ×3, first 2 shown]
	s_delay_alu instid0(VALU_DEP_4) | instskip(SKIP_1) | instid1(VALU_DEP_3)
	v_cmp_gt_f64_e32 vcc_lo, 0, v[101:102]
	v_add_f64 v[101:102], v[99:100], -v[103:104]
	v_add_f64 v[12:13], v[95:96], -v[12:13]
	s_and_b32 s5, vcc_lo, exec_lo
	s_cselect_b32 s11, 0x40100000, 0
	s_delay_alu instid0(VALU_DEP_2) | instskip(SKIP_3) | instid1(VALU_DEP_4)
	v_add_f64 v[109:110], v[99:100], -v[101:102]
	v_add_f64 v[81:82], v[81:82], s[10:11]
	v_add_f64 v[8:9], v[8:9], -v[101:102]
	v_add_f64 v[99:100], v[99:100], -v[111:112]
	;; [unrolled: 1-line block ×3, first 2 shown]
	s_delay_alu instid0(VALU_DEP_4) | instskip(NEXT) | instid1(VALU_DEP_3)
	v_add_f64 v[107:108], v[97:98], v[81:82]
	v_add_f64 v[10:11], v[10:11], v[99:100]
	s_delay_alu instid0(VALU_DEP_3) | instskip(NEXT) | instid1(VALU_DEP_3)
	v_add_f64 v[8:9], v[8:9], v[101:102]
	v_cvt_i32_f64_e32 v107, v[107:108]
	s_delay_alu instid0(VALU_DEP_2) | instskip(NEXT) | instid1(VALU_DEP_2)
	v_add_f64 v[8:9], v[8:9], v[10:11]
	v_cvt_f64_i32_e32 v[105:106], v107
	s_delay_alu instid0(VALU_DEP_2) | instskip(NEXT) | instid1(VALU_DEP_2)
	v_add_f64 v[6:7], v[6:7], v[8:9]
	v_add_f64 v[81:82], v[81:82], -v[105:106]
	s_delay_alu instid0(VALU_DEP_2) | instskip(NEXT) | instid1(VALU_DEP_2)
	v_add_f64 v[6:7], v[12:13], v[6:7]
	v_add_f64 v[10:11], v[97:98], v[81:82]
	s_delay_alu instid0(VALU_DEP_1) | instskip(SKIP_1) | instid1(VALU_DEP_2)
	v_add_f64 v[8:9], v[10:11], -v[81:82]
	v_cmp_le_f64_e32 vcc_lo, 0.5, v[10:11]
	v_add_f64 v[8:9], v[97:98], -v[8:9]
	s_and_b32 s5, vcc_lo, exec_lo
	s_cselect_b32 s11, 0x3ff00000, 0
	v_add_co_ci_u32_e64 v96, s5, 0, v107, vcc_lo
	s_delay_alu instid0(VALU_DEP_2) | instskip(SKIP_1) | instid1(VALU_DEP_1)
	v_add_f64 v[6:7], v[6:7], v[8:9]
	v_add_f64 v[8:9], v[10:11], -s[10:11]
	v_add_f64 v[10:11], v[8:9], v[6:7]
	s_delay_alu instid0(VALU_DEP_1) | instskip(SKIP_1) | instid1(VALU_DEP_2)
	v_mul_f64 v[12:13], v[10:11], s[14:15]
	v_add_f64 v[8:9], v[10:11], -v[8:9]
	v_fma_f64 v[79:80], v[10:11], s[14:15], -v[12:13]
	s_delay_alu instid0(VALU_DEP_2) | instskip(NEXT) | instid1(VALU_DEP_2)
	v_add_f64 v[6:7], v[6:7], -v[8:9]
	v_fma_f64 v[8:9], v[10:11], s[18:19], v[79:80]
	s_delay_alu instid0(VALU_DEP_1) | instskip(NEXT) | instid1(VALU_DEP_1)
	v_fma_f64 v[6:7], v[6:7], s[14:15], v[8:9]
	v_add_f64 v[8:9], v[12:13], v[6:7]
	s_delay_alu instid0(VALU_DEP_1) | instskip(NEXT) | instid1(VALU_DEP_1)
	v_add_f64 v[10:11], v[8:9], -v[12:13]
	v_add_f64 v[81:82], v[6:7], -v[10:11]
	s_cbranch_execz .LBB1_63
	s_branch .LBB1_64
.LBB1_60:
	s_and_not1_saveexec_b32 s5, s10
	s_cbranch_execz .LBB1_58
.LBB1_61:
	s_mov_b32 s10, 0x6dc9c883
	s_mov_b32 s11, 0x3fe45f30
	;; [unrolled: 1-line block ×3, first 2 shown]
	v_mul_f64 v[63:64], |v[4:5]|, s[10:11]
	s_mov_b32 s10, 0x54442d18
	s_mov_b32 s11, 0xbff921fb
	;; [unrolled: 1-line block ×3, first 2 shown]
	s_delay_alu instid0(VALU_DEP_1) | instskip(NEXT) | instid1(VALU_DEP_1)
	v_rndne_f64_e32 v[79:80], v[63:64]
	v_fma_f64 v[63:64], v[79:80], s[10:11], |v[4:5]|
	v_mul_f64 v[65:66], v[79:80], s[14:15]
	s_mov_b32 s10, 0x252049c0
	s_mov_b32 s11, 0xb97b839a
	v_cvt_i32_f64_e32 v92, v[79:80]
	s_delay_alu instid0(VALU_DEP_3) | instskip(NEXT) | instid1(VALU_DEP_3)
	v_fma_f64 v[95:96], v[79:80], s[14:15], v[63:64]
	v_add_f64 v[81:82], v[63:64], v[65:66]
	s_mov_b32 s15, 0x3c91a626
	s_delay_alu instid0(VALU_DEP_1) | instskip(NEXT) | instid1(VALU_DEP_3)
	v_add_f64 v[63:64], v[63:64], -v[81:82]
	v_add_f64 v[81:82], v[81:82], -v[95:96]
	s_delay_alu instid0(VALU_DEP_2) | instskip(SKIP_1) | instid1(VALU_DEP_2)
	v_add_f64 v[63:64], v[63:64], v[65:66]
	v_fma_f64 v[65:66], v[79:80], s[14:15], v[65:66]
	v_add_f64 v[63:64], v[81:82], v[63:64]
	s_delay_alu instid0(VALU_DEP_1) | instskip(NEXT) | instid1(VALU_DEP_1)
	v_add_f64 v[63:64], v[63:64], -v[65:66]
	v_fma_f64 v[65:66], v[79:80], s[10:11], v[63:64]
	s_delay_alu instid0(VALU_DEP_1) | instskip(NEXT) | instid1(VALU_DEP_1)
	v_add_f64 v[63:64], v[95:96], v[65:66]
	v_add_f64 v[81:82], v[63:64], -v[95:96]
	s_delay_alu instid0(VALU_DEP_1) | instskip(SKIP_1) | instid1(SALU_CYCLE_1)
	v_add_f64 v[65:66], v[65:66], -v[81:82]
	s_or_b32 exec_lo, exec_lo, s5
	s_and_b32 vcc_lo, exec_lo, s24
	s_cbranch_vccnz .LBB1_59
.LBB1_62:
                                        ; implicit-def: $vgpr96
                                        ; implicit-def: $vgpr8_vgpr9
                                        ; implicit-def: $vgpr81_vgpr82
.LBB1_63:
	s_mov_b32 s10, 0x6dc9c883
	s_mov_b32 s11, 0x3fe45f30
	;; [unrolled: 1-line block ×3, first 2 shown]
	v_mul_f64 v[6:7], |s[6:7]|, s[10:11]
	s_mov_b32 s10, 0x54442d18
	s_mov_b32 s11, 0xbff921fb
	;; [unrolled: 1-line block ×3, first 2 shown]
	s_delay_alu instid0(VALU_DEP_1) | instskip(NEXT) | instid1(VALU_DEP_1)
	v_rndne_f64_e32 v[6:7], v[6:7]
	v_fma_f64 v[8:9], v[6:7], s[10:11], |s[6:7]|
	v_mul_f64 v[10:11], v[6:7], s[14:15]
	s_mov_b32 s10, 0x252049c0
	s_mov_b32 s11, 0xb97b839a
	v_cvt_i32_f64_e32 v96, v[6:7]
	s_delay_alu instid0(VALU_DEP_3) | instskip(NEXT) | instid1(VALU_DEP_3)
	v_fma_f64 v[79:80], v[6:7], s[14:15], v[8:9]
	v_add_f64 v[12:13], v[8:9], v[10:11]
	s_mov_b32 s15, 0x3c91a626
	s_delay_alu instid0(VALU_DEP_1) | instskip(NEXT) | instid1(VALU_DEP_3)
	v_add_f64 v[8:9], v[8:9], -v[12:13]
	v_add_f64 v[12:13], v[12:13], -v[79:80]
	s_delay_alu instid0(VALU_DEP_2) | instskip(SKIP_1) | instid1(VALU_DEP_2)
	v_add_f64 v[8:9], v[8:9], v[10:11]
	v_fma_f64 v[10:11], v[6:7], s[14:15], v[10:11]
	v_add_f64 v[8:9], v[12:13], v[8:9]
	s_delay_alu instid0(VALU_DEP_1) | instskip(NEXT) | instid1(VALU_DEP_1)
	v_add_f64 v[8:9], v[8:9], -v[10:11]
	v_fma_f64 v[10:11], v[6:7], s[10:11], v[8:9]
	s_delay_alu instid0(VALU_DEP_1) | instskip(NEXT) | instid1(VALU_DEP_1)
	v_add_f64 v[8:9], v[79:80], v[10:11]
	v_add_f64 v[12:13], v[8:9], -v[79:80]
	s_delay_alu instid0(VALU_DEP_1)
	v_add_f64 v[81:82], v[10:11], -v[12:13]
.LBB1_64:
                                        ; implicit-def: $vgpr95
                                        ; implicit-def: $vgpr10_vgpr11
                                        ; implicit-def: $vgpr79_vgpr80
	s_and_saveexec_b32 s5, s4
	s_delay_alu instid0(SALU_CYCLE_1)
	s_xor_b32 s5, exec_lo, s5
	s_cbranch_execz .LBB1_66
; %bb.65:
	v_cmp_le_f64_e32 vcc_lo, 0x7b000000, v[61:62]
	v_mov_b32_e32 v103, 0
	s_mov_b32 s10, 0x54442d18
	s_mov_b32 s11, 0x3ff921fb
	s_mov_b32 s14, 0x33145c07
	s_mov_b32 s15, 0x3c91a626
	v_dual_cndmask_b32 v7, v62, v78 :: v_dual_cndmask_b32 v6, v61, v77
	s_delay_alu instid0(VALU_DEP_1) | instskip(SKIP_2) | instid1(VALU_DEP_3)
	v_mul_f64 v[10:11], v[75:76], v[6:7]
	v_mul_f64 v[12:13], v[59:60], v[6:7]
	;; [unrolled: 1-line block ×3, first 2 shown]
	v_fma_f64 v[75:76], v[75:76], v[6:7], -v[10:11]
	s_delay_alu instid0(VALU_DEP_3) | instskip(NEXT) | instid1(VALU_DEP_3)
	v_fma_f64 v[59:60], v[59:60], v[6:7], -v[12:13]
	v_fma_f64 v[6:7], v[57:58], v[6:7], -v[101:102]
	s_delay_alu instid0(VALU_DEP_3) | instskip(NEXT) | instid1(VALU_DEP_1)
	v_add_f64 v[77:78], v[12:13], v[75:76]
	v_add_f64 v[79:80], v[77:78], -v[12:13]
	v_add_f64 v[99:100], v[10:11], v[77:78]
	s_delay_alu instid0(VALU_DEP_2) | instskip(SKIP_1) | instid1(VALU_DEP_3)
	v_add_f64 v[97:98], v[77:78], -v[79:80]
	v_add_f64 v[75:76], v[75:76], -v[79:80]
	v_ldexp_f64 v[79:80], v[99:100], -2
	v_add_f64 v[10:11], v[99:100], -v[10:11]
	s_delay_alu instid0(VALU_DEP_4) | instskip(SKIP_1) | instid1(VALU_DEP_4)
	v_add_f64 v[12:13], v[12:13], -v[97:98]
	v_add_f64 v[97:98], v[101:102], v[59:60]
	v_cmp_neq_f64_e64 vcc_lo, 0x7ff00000, |v[79:80]|
	s_delay_alu instid0(VALU_DEP_4) | instskip(NEXT) | instid1(VALU_DEP_4)
	v_add_f64 v[10:11], v[77:78], -v[10:11]
	v_add_f64 v[12:13], v[75:76], v[12:13]
	v_fract_f64_e32 v[75:76], v[79:80]
	s_delay_alu instid0(VALU_DEP_2) | instskip(NEXT) | instid1(VALU_DEP_2)
	v_add_f64 v[77:78], v[97:98], v[12:13]
	v_dual_cndmask_b32 v76, 0, v76 :: v_dual_cndmask_b32 v75, 0, v75
	s_delay_alu instid0(VALU_DEP_1) | instskip(NEXT) | instid1(VALU_DEP_3)
	v_ldexp_f64 v[75:76], v[75:76], 2
	v_add_f64 v[79:80], v[10:11], v[77:78]
	s_delay_alu instid0(VALU_DEP_1) | instskip(SKIP_1) | instid1(VALU_DEP_2)
	v_add_f64 v[99:100], v[79:80], v[75:76]
	v_add_f64 v[10:11], v[79:80], -v[10:11]
	v_cmp_gt_f64_e32 vcc_lo, 0, v[99:100]
	v_add_f64 v[99:100], v[97:98], -v[101:102]
	s_delay_alu instid0(VALU_DEP_3) | instskip(SKIP_1) | instid1(VALU_DEP_3)
	v_add_f64 v[10:11], v[77:78], -v[10:11]
	v_cndmask_b32_e64 v104, 0, 0x40100000, vcc_lo
	v_add_f64 v[108:109], v[97:98], -v[99:100]
	v_add_f64 v[59:60], v[59:60], -v[99:100]
	s_delay_alu instid0(VALU_DEP_3) | instskip(SKIP_1) | instid1(VALU_DEP_4)
	v_add_f64 v[75:76], v[75:76], v[103:104]
	v_add_f64 v[104:105], v[77:78], -v[97:98]
	v_add_f64 v[99:100], v[101:102], -v[108:109]
	s_delay_alu instid0(VALU_DEP_3) | instskip(NEXT) | instid1(VALU_DEP_3)
	v_add_f64 v[106:107], v[79:80], v[75:76]
	v_add_f64 v[110:111], v[77:78], -v[104:105]
	v_add_f64 v[12:13], v[12:13], -v[104:105]
	s_delay_alu instid0(VALU_DEP_4) | instskip(NEXT) | instid1(VALU_DEP_4)
	v_add_f64 v[59:60], v[59:60], v[99:100]
	v_cvt_i32_f64_e32 v95, v[106:107]
	s_delay_alu instid0(VALU_DEP_4) | instskip(NEXT) | instid1(VALU_DEP_2)
	v_add_f64 v[97:98], v[97:98], -v[110:111]
	v_cvt_f64_i32_e32 v[104:105], v95
	s_delay_alu instid0(VALU_DEP_2) | instskip(NEXT) | instid1(VALU_DEP_2)
	v_add_f64 v[12:13], v[12:13], v[97:98]
	v_add_f64 v[75:76], v[75:76], -v[104:105]
	s_delay_alu instid0(VALU_DEP_2) | instskip(NEXT) | instid1(VALU_DEP_2)
	v_add_f64 v[12:13], v[59:60], v[12:13]
	v_add_f64 v[57:58], v[79:80], v[75:76]
	s_delay_alu instid0(VALU_DEP_2) | instskip(NEXT) | instid1(VALU_DEP_2)
	v_add_f64 v[6:7], v[6:7], v[12:13]
	v_add_f64 v[12:13], v[57:58], -v[75:76]
	v_cmp_le_f64_e32 vcc_lo, 0.5, v[57:58]
	s_delay_alu instid0(VALU_DEP_3) | instskip(NEXT) | instid1(VALU_DEP_3)
	v_add_f64 v[6:7], v[10:11], v[6:7]
	v_add_f64 v[10:11], v[79:80], -v[12:13]
	v_cndmask_b32_e64 v104, 0, 0x3ff00000, vcc_lo
	v_add_co_ci_u32_e64 v95, s4, 0, v95, vcc_lo
	s_delay_alu instid0(VALU_DEP_3) | instskip(NEXT) | instid1(VALU_DEP_3)
	v_add_f64 v[6:7], v[6:7], v[10:11]
	v_add_f64 v[10:11], v[57:58], -v[103:104]
	s_delay_alu instid0(VALU_DEP_1) | instskip(NEXT) | instid1(VALU_DEP_1)
	v_add_f64 v[12:13], v[10:11], v[6:7]
	v_mul_f64 v[57:58], v[12:13], s[10:11]
	v_add_f64 v[10:11], v[12:13], -v[10:11]
	s_delay_alu instid0(VALU_DEP_2) | instskip(NEXT) | instid1(VALU_DEP_2)
	v_fma_f64 v[59:60], v[12:13], s[10:11], -v[57:58]
	v_add_f64 v[6:7], v[6:7], -v[10:11]
	s_delay_alu instid0(VALU_DEP_2) | instskip(NEXT) | instid1(VALU_DEP_1)
	v_fma_f64 v[10:11], v[12:13], s[14:15], v[59:60]
	v_fma_f64 v[6:7], v[6:7], s[10:11], v[10:11]
	s_delay_alu instid0(VALU_DEP_1) | instskip(NEXT) | instid1(VALU_DEP_1)
	v_add_f64 v[10:11], v[57:58], v[6:7]
	v_add_f64 v[12:13], v[10:11], -v[57:58]
	s_delay_alu instid0(VALU_DEP_1)
	v_add_f64 v[79:80], v[6:7], -v[12:13]
	s_and_not1_saveexec_b32 s4, s5
	s_cbranch_execz .LBB1_68
	s_branch .LBB1_67
.LBB1_66:
	s_and_not1_saveexec_b32 s4, s5
	s_cbranch_execz .LBB1_68
.LBB1_67:
	s_mov_b32 s10, 0x6dc9c883
	s_mov_b32 s11, 0x3fe45f30
	;; [unrolled: 1-line block ×3, first 2 shown]
	v_mul_f64 v[6:7], v[61:62], s[10:11]
	s_mov_b32 s10, 0x54442d18
	s_mov_b32 s11, 0xbff921fb
	;; [unrolled: 1-line block ×3, first 2 shown]
	s_delay_alu instid0(VALU_DEP_1) | instskip(NEXT) | instid1(VALU_DEP_1)
	v_rndne_f64_e32 v[6:7], v[6:7]
	v_fma_f64 v[10:11], v[6:7], s[10:11], v[61:62]
	v_mul_f64 v[12:13], v[6:7], s[14:15]
	s_mov_b32 s10, 0x252049c0
	s_mov_b32 s11, 0xb97b839a
	v_cvt_i32_f64_e32 v95, v[6:7]
	s_delay_alu instid0(VALU_DEP_3) | instskip(NEXT) | instid1(VALU_DEP_3)
	v_fma_f64 v[59:60], v[6:7], s[14:15], v[10:11]
	v_add_f64 v[57:58], v[10:11], v[12:13]
	s_mov_b32 s15, 0x3c91a626
	s_delay_alu instid0(VALU_DEP_1) | instskip(NEXT) | instid1(VALU_DEP_3)
	v_add_f64 v[10:11], v[10:11], -v[57:58]
	v_add_f64 v[57:58], v[57:58], -v[59:60]
	s_delay_alu instid0(VALU_DEP_2) | instskip(SKIP_1) | instid1(VALU_DEP_2)
	v_add_f64 v[10:11], v[10:11], v[12:13]
	v_fma_f64 v[12:13], v[6:7], s[14:15], v[12:13]
	v_add_f64 v[10:11], v[57:58], v[10:11]
	s_delay_alu instid0(VALU_DEP_1) | instskip(NEXT) | instid1(VALU_DEP_1)
	v_add_f64 v[10:11], v[10:11], -v[12:13]
	v_fma_f64 v[12:13], v[6:7], s[10:11], v[10:11]
	s_delay_alu instid0(VALU_DEP_1) | instskip(NEXT) | instid1(VALU_DEP_1)
	v_add_f64 v[10:11], v[59:60], v[12:13]
	v_add_f64 v[57:58], v[10:11], -v[59:60]
	s_delay_alu instid0(VALU_DEP_1)
	v_add_f64 v[79:80], v[12:13], -v[57:58]
.LBB1_68:
	s_or_b32 exec_lo, exec_lo, s4
                                        ; implicit-def: $vgpr78
                                        ; implicit-def: $vgpr12_vgpr13
                                        ; implicit-def: $vgpr75_vgpr76
	s_and_saveexec_b32 s4, s12
	s_delay_alu instid0(SALU_CYCLE_1)
	s_xor_b32 s5, exec_lo, s4
	s_cbranch_execz .LBB1_70
; %bb.69:
	v_cmp_le_f64_e64 vcc_lo, 0x7b000000, |v[4:5]|
	v_mov_b32_e32 v105, 0
	s_mov_b32 s10, 0x54442d18
	s_mov_b32 s11, 0x3ff921fb
	;; [unrolled: 1-line block ×4, first 2 shown]
	v_dual_cndmask_b32 v7, v89, v56 :: v_dual_cndmask_b32 v6, v4, v55
	s_delay_alu instid0(VALU_DEP_1) | instskip(SKIP_2) | instid1(VALU_DEP_3)
	v_mul_f64 v[12:13], v[53:54], v[6:7]
	v_mul_f64 v[57:58], v[51:52], v[6:7]
	;; [unrolled: 1-line block ×3, first 2 shown]
	v_fma_f64 v[59:60], v[53:54], v[6:7], -v[12:13]
	s_delay_alu instid0(VALU_DEP_3) | instskip(NEXT) | instid1(VALU_DEP_3)
	v_fma_f64 v[103:104], v[51:52], v[6:7], -v[57:58]
	v_fma_f64 v[6:7], v[45:46], v[6:7], -v[101:102]
	s_delay_alu instid0(VALU_DEP_3) | instskip(NEXT) | instid1(VALU_DEP_1)
	v_add_f64 v[75:76], v[57:58], v[59:60]
	v_add_f64 v[77:78], v[75:76], -v[57:58]
	v_add_f64 v[99:100], v[12:13], v[75:76]
	s_delay_alu instid0(VALU_DEP_2) | instskip(SKIP_1) | instid1(VALU_DEP_3)
	v_add_f64 v[97:98], v[75:76], -v[77:78]
	v_add_f64 v[59:60], v[59:60], -v[77:78]
	v_ldexp_f64 v[77:78], v[99:100], -2
	v_add_f64 v[12:13], v[99:100], -v[12:13]
	s_delay_alu instid0(VALU_DEP_4) | instskip(SKIP_1) | instid1(VALU_DEP_4)
	v_add_f64 v[57:58], v[57:58], -v[97:98]
	v_add_f64 v[97:98], v[101:102], v[103:104]
	v_cmp_neq_f64_e64 vcc_lo, 0x7ff00000, |v[77:78]|
	s_delay_alu instid0(VALU_DEP_4) | instskip(NEXT) | instid1(VALU_DEP_4)
	v_add_f64 v[12:13], v[75:76], -v[12:13]
	v_add_f64 v[57:58], v[59:60], v[57:58]
	v_fract_f64_e32 v[59:60], v[77:78]
	s_delay_alu instid0(VALU_DEP_2) | instskip(NEXT) | instid1(VALU_DEP_2)
	v_add_f64 v[75:76], v[97:98], v[57:58]
	v_dual_cndmask_b32 v60, 0, v60 :: v_dual_cndmask_b32 v59, 0, v59
	s_delay_alu instid0(VALU_DEP_1) | instskip(NEXT) | instid1(VALU_DEP_3)
	v_ldexp_f64 v[59:60], v[59:60], 2
	v_add_f64 v[77:78], v[12:13], v[75:76]
	s_delay_alu instid0(VALU_DEP_1) | instskip(SKIP_1) | instid1(VALU_DEP_2)
	v_add_f64 v[99:100], v[77:78], v[59:60]
	v_add_f64 v[12:13], v[77:78], -v[12:13]
	v_cmp_gt_f64_e32 vcc_lo, 0, v[99:100]
	v_add_f64 v[99:100], v[97:98], -v[101:102]
	s_delay_alu instid0(VALU_DEP_3) | instskip(SKIP_1) | instid1(VALU_DEP_3)
	v_add_f64 v[12:13], v[75:76], -v[12:13]
	v_cndmask_b32_e64 v106, 0, 0x40100000, vcc_lo
	v_add_f64 v[110:111], v[97:98], -v[99:100]
	v_add_f64 v[99:100], v[103:104], -v[99:100]
	s_delay_alu instid0(VALU_DEP_3) | instskip(SKIP_1) | instid1(VALU_DEP_4)
	v_add_f64 v[59:60], v[59:60], v[105:106]
	v_add_f64 v[106:107], v[75:76], -v[97:98]
	v_add_f64 v[103:104], v[101:102], -v[110:111]
	s_delay_alu instid0(VALU_DEP_3) | instskip(NEXT) | instid1(VALU_DEP_3)
	v_add_f64 v[108:109], v[77:78], v[59:60]
	v_add_f64 v[112:113], v[75:76], -v[106:107]
	v_add_f64 v[57:58], v[57:58], -v[106:107]
	s_delay_alu instid0(VALU_DEP_4) | instskip(NEXT) | instid1(VALU_DEP_4)
	v_add_f64 v[99:100], v[99:100], v[103:104]
	v_cvt_i32_f64_e32 v108, v[108:109]
	s_delay_alu instid0(VALU_DEP_4) | instskip(NEXT) | instid1(VALU_DEP_2)
	v_add_f64 v[97:98], v[97:98], -v[112:113]
	v_cvt_f64_i32_e32 v[106:107], v108
	s_delay_alu instid0(VALU_DEP_2) | instskip(NEXT) | instid1(VALU_DEP_2)
	v_add_f64 v[57:58], v[57:58], v[97:98]
	v_add_f64 v[59:60], v[59:60], -v[106:107]
	s_delay_alu instid0(VALU_DEP_2) | instskip(NEXT) | instid1(VALU_DEP_2)
	v_add_f64 v[57:58], v[99:100], v[57:58]
	v_add_f64 v[97:98], v[77:78], v[59:60]
	s_delay_alu instid0(VALU_DEP_2) | instskip(NEXT) | instid1(VALU_DEP_2)
	v_add_f64 v[6:7], v[6:7], v[57:58]
	v_add_f64 v[57:58], v[97:98], -v[59:60]
	v_cmp_le_f64_e32 vcc_lo, 0.5, v[97:98]
	s_delay_alu instid0(VALU_DEP_3) | instskip(NEXT) | instid1(VALU_DEP_3)
	v_add_f64 v[6:7], v[12:13], v[6:7]
	v_add_f64 v[12:13], v[77:78], -v[57:58]
	v_cndmask_b32_e64 v106, 0, 0x3ff00000, vcc_lo
	v_add_co_ci_u32_e64 v78, s4, 0, v108, vcc_lo
	s_delay_alu instid0(VALU_DEP_3) | instskip(NEXT) | instid1(VALU_DEP_3)
	v_add_f64 v[6:7], v[6:7], v[12:13]
	v_add_f64 v[12:13], v[97:98], -v[105:106]
	s_delay_alu instid0(VALU_DEP_1) | instskip(NEXT) | instid1(VALU_DEP_1)
	v_add_f64 v[57:58], v[12:13], v[6:7]
	v_mul_f64 v[59:60], v[57:58], s[10:11]
	v_add_f64 v[12:13], v[57:58], -v[12:13]
	s_delay_alu instid0(VALU_DEP_2) | instskip(NEXT) | instid1(VALU_DEP_2)
	v_fma_f64 v[75:76], v[57:58], s[10:11], -v[59:60]
	v_add_f64 v[6:7], v[6:7], -v[12:13]
	s_delay_alu instid0(VALU_DEP_2) | instskip(NEXT) | instid1(VALU_DEP_1)
	v_fma_f64 v[12:13], v[57:58], s[14:15], v[75:76]
	v_fma_f64 v[6:7], v[6:7], s[10:11], v[12:13]
	s_delay_alu instid0(VALU_DEP_1) | instskip(NEXT) | instid1(VALU_DEP_1)
	v_add_f64 v[12:13], v[59:60], v[6:7]
	v_add_f64 v[57:58], v[12:13], -v[59:60]
	s_delay_alu instid0(VALU_DEP_1)
	v_add_f64 v[75:76], v[6:7], -v[57:58]
	s_and_not1_saveexec_b32 s4, s5
	s_cbranch_execnz .LBB1_71
	s_branch .LBB1_72
.LBB1_70:
	s_and_not1_saveexec_b32 s4, s5
	s_cbranch_execz .LBB1_72
.LBB1_71:
	s_mov_b32 s10, 0x6dc9c883
	s_mov_b32 s11, 0x3fe45f30
	;; [unrolled: 1-line block ×3, first 2 shown]
	v_mul_f64 v[6:7], |v[4:5]|, s[10:11]
	s_mov_b32 s10, 0x54442d18
	s_mov_b32 s11, 0xbff921fb
	;; [unrolled: 1-line block ×3, first 2 shown]
	s_delay_alu instid0(VALU_DEP_1) | instskip(NEXT) | instid1(VALU_DEP_1)
	v_rndne_f64_e32 v[6:7], v[6:7]
	v_fma_f64 v[12:13], v[6:7], s[10:11], |v[4:5]|
	v_mul_f64 v[57:58], v[6:7], s[14:15]
	s_mov_b32 s10, 0x252049c0
	s_mov_b32 s11, 0xb97b839a
	v_cvt_i32_f64_e32 v78, v[6:7]
	s_delay_alu instid0(VALU_DEP_3) | instskip(NEXT) | instid1(VALU_DEP_3)
	v_fma_f64 v[75:76], v[6:7], s[14:15], v[12:13]
	v_add_f64 v[59:60], v[12:13], v[57:58]
	s_mov_b32 s15, 0x3c91a626
	s_delay_alu instid0(VALU_DEP_1) | instskip(NEXT) | instid1(VALU_DEP_3)
	v_add_f64 v[12:13], v[12:13], -v[59:60]
	v_add_f64 v[59:60], v[59:60], -v[75:76]
	s_delay_alu instid0(VALU_DEP_2) | instskip(SKIP_1) | instid1(VALU_DEP_2)
	v_add_f64 v[12:13], v[12:13], v[57:58]
	v_fma_f64 v[57:58], v[6:7], s[14:15], v[57:58]
	v_add_f64 v[12:13], v[59:60], v[12:13]
	s_delay_alu instid0(VALU_DEP_1) | instskip(NEXT) | instid1(VALU_DEP_1)
	v_add_f64 v[12:13], v[12:13], -v[57:58]
	v_fma_f64 v[57:58], v[6:7], s[10:11], v[12:13]
	s_delay_alu instid0(VALU_DEP_1) | instskip(NEXT) | instid1(VALU_DEP_1)
	v_add_f64 v[12:13], v[75:76], v[57:58]
	v_add_f64 v[59:60], v[12:13], -v[75:76]
	s_delay_alu instid0(VALU_DEP_1)
	v_add_f64 v[75:76], v[57:58], -v[59:60]
.LBB1_72:
	s_or_b32 exec_lo, exec_lo, s4
	s_load_b64 s[40:41], s[0:1], 0x0
                                        ; implicit-def: $vgpr77
                                        ; implicit-def: $vgpr57_vgpr58
                                        ; implicit-def: $vgpr59_vgpr60
	s_and_saveexec_b32 s0, s12
	s_delay_alu instid0(SALU_CYCLE_1)
	s_xor_b32 s1, exec_lo, s0
	s_cbranch_execz .LBB1_74
; %bb.73:
	v_cmp_le_f64_e64 vcc_lo, 0x7b000000, |v[4:5]|
	v_mov_b32_e32 v105, 0
	s_mov_b32 s4, 0x54442d18
	s_mov_b32 s5, 0x3ff921fb
	;; [unrolled: 1-line block ×4, first 2 shown]
	v_dual_cndmask_b32 v7, v89, v56 :: v_dual_cndmask_b32 v6, v4, v55
	s_delay_alu instid0(VALU_DEP_1) | instskip(SKIP_2) | instid1(VALU_DEP_3)
	v_mul_f64 v[55:56], v[53:54], v[6:7]
	v_mul_f64 v[57:58], v[51:52], v[6:7]
	;; [unrolled: 1-line block ×3, first 2 shown]
	v_fma_f64 v[53:54], v[53:54], v[6:7], -v[55:56]
	s_delay_alu instid0(VALU_DEP_3) | instskip(NEXT) | instid1(VALU_DEP_3)
	v_fma_f64 v[51:52], v[51:52], v[6:7], -v[57:58]
	v_fma_f64 v[6:7], v[45:46], v[6:7], -v[103:104]
	s_delay_alu instid0(VALU_DEP_3) | instskip(NEXT) | instid1(VALU_DEP_1)
	v_add_f64 v[59:60], v[57:58], v[53:54]
	v_add_f64 v[97:98], v[59:60], -v[57:58]
	v_add_f64 v[101:102], v[55:56], v[59:60]
	s_delay_alu instid0(VALU_DEP_2) | instskip(SKIP_1) | instid1(VALU_DEP_3)
	v_add_f64 v[99:100], v[59:60], -v[97:98]
	v_add_f64 v[53:54], v[53:54], -v[97:98]
	v_ldexp_f64 v[97:98], v[101:102], -2
	v_add_f64 v[55:56], v[101:102], -v[55:56]
	s_delay_alu instid0(VALU_DEP_4) | instskip(SKIP_1) | instid1(VALU_DEP_4)
	v_add_f64 v[57:58], v[57:58], -v[99:100]
	v_add_f64 v[99:100], v[103:104], v[51:52]
	v_cmp_neq_f64_e64 vcc_lo, 0x7ff00000, |v[97:98]|
	s_delay_alu instid0(VALU_DEP_4) | instskip(NEXT) | instid1(VALU_DEP_4)
	v_add_f64 v[55:56], v[59:60], -v[55:56]
	v_add_f64 v[53:54], v[53:54], v[57:58]
	v_fract_f64_e32 v[57:58], v[97:98]
	s_delay_alu instid0(VALU_DEP_2) | instskip(NEXT) | instid1(VALU_DEP_2)
	v_add_f64 v[59:60], v[99:100], v[53:54]
	v_dual_cndmask_b32 v58, 0, v58 :: v_dual_cndmask_b32 v57, 0, v57
	s_delay_alu instid0(VALU_DEP_1) | instskip(NEXT) | instid1(VALU_DEP_3)
	v_ldexp_f64 v[57:58], v[57:58], 2
	v_add_f64 v[97:98], v[55:56], v[59:60]
	s_delay_alu instid0(VALU_DEP_1) | instskip(SKIP_1) | instid1(VALU_DEP_2)
	v_add_f64 v[101:102], v[97:98], v[57:58]
	v_add_f64 v[45:46], v[97:98], -v[55:56]
	v_cmp_gt_f64_e32 vcc_lo, 0, v[101:102]
	v_add_f64 v[101:102], v[99:100], -v[103:104]
	s_delay_alu instid0(VALU_DEP_3) | instskip(SKIP_1) | instid1(VALU_DEP_3)
	v_add_f64 v[45:46], v[59:60], -v[45:46]
	v_cndmask_b32_e64 v106, 0, 0x40100000, vcc_lo
	v_add_f64 v[110:111], v[99:100], -v[101:102]
	v_add_f64 v[51:52], v[51:52], -v[101:102]
	s_delay_alu instid0(VALU_DEP_3) | instskip(SKIP_1) | instid1(VALU_DEP_4)
	v_add_f64 v[57:58], v[57:58], v[105:106]
	v_add_f64 v[106:107], v[59:60], -v[99:100]
	v_add_f64 v[101:102], v[103:104], -v[110:111]
	s_delay_alu instid0(VALU_DEP_3) | instskip(NEXT) | instid1(VALU_DEP_3)
	v_add_f64 v[108:109], v[97:98], v[57:58]
	v_add_f64 v[112:113], v[59:60], -v[106:107]
	v_add_f64 v[53:54], v[53:54], -v[106:107]
	s_delay_alu instid0(VALU_DEP_4) | instskip(NEXT) | instid1(VALU_DEP_4)
	v_add_f64 v[51:52], v[51:52], v[101:102]
	v_cvt_i32_f64_e32 v77, v[108:109]
	s_delay_alu instid0(VALU_DEP_4) | instskip(NEXT) | instid1(VALU_DEP_2)
	v_add_f64 v[99:100], v[99:100], -v[112:113]
	v_cvt_f64_i32_e32 v[106:107], v77
	s_delay_alu instid0(VALU_DEP_2) | instskip(NEXT) | instid1(VALU_DEP_2)
	v_add_f64 v[53:54], v[53:54], v[99:100]
	v_add_f64 v[57:58], v[57:58], -v[106:107]
	s_delay_alu instid0(VALU_DEP_2) | instskip(NEXT) | instid1(VALU_DEP_2)
	v_add_f64 v[51:52], v[51:52], v[53:54]
	v_add_f64 v[53:54], v[97:98], v[57:58]
	s_delay_alu instid0(VALU_DEP_2) | instskip(NEXT) | instid1(VALU_DEP_2)
	v_add_f64 v[6:7], v[6:7], v[51:52]
	v_add_f64 v[51:52], v[53:54], -v[57:58]
	v_cmp_le_f64_e32 vcc_lo, 0.5, v[53:54]
	s_delay_alu instid0(VALU_DEP_3) | instskip(NEXT) | instid1(VALU_DEP_3)
	v_add_f64 v[6:7], v[45:46], v[6:7]
	v_add_f64 v[45:46], v[97:98], -v[51:52]
	v_cndmask_b32_e64 v106, 0, 0x3ff00000, vcc_lo
	v_add_co_ci_u32_e64 v77, s0, 0, v77, vcc_lo
	s_delay_alu instid0(VALU_DEP_3) | instskip(NEXT) | instid1(VALU_DEP_3)
	v_add_f64 v[6:7], v[6:7], v[45:46]
	v_add_f64 v[45:46], v[53:54], -v[105:106]
	s_delay_alu instid0(VALU_DEP_1) | instskip(NEXT) | instid1(VALU_DEP_1)
	v_add_f64 v[51:52], v[45:46], v[6:7]
	v_mul_f64 v[53:54], v[51:52], s[4:5]
	v_add_f64 v[45:46], v[51:52], -v[45:46]
	s_delay_alu instid0(VALU_DEP_2) | instskip(NEXT) | instid1(VALU_DEP_2)
	v_fma_f64 v[55:56], v[51:52], s[4:5], -v[53:54]
	v_add_f64 v[6:7], v[6:7], -v[45:46]
	s_delay_alu instid0(VALU_DEP_2) | instskip(NEXT) | instid1(VALU_DEP_1)
	v_fma_f64 v[45:46], v[51:52], s[10:11], v[55:56]
	v_fma_f64 v[6:7], v[6:7], s[4:5], v[45:46]
	s_delay_alu instid0(VALU_DEP_1) | instskip(NEXT) | instid1(VALU_DEP_1)
	v_add_f64 v[57:58], v[53:54], v[6:7]
	v_add_f64 v[45:46], v[57:58], -v[53:54]
	s_delay_alu instid0(VALU_DEP_1)
	v_add_f64 v[59:60], v[6:7], -v[45:46]
.LBB1_74:
	s_or_saveexec_b32 s0, s1
	v_mul_f64 v[6:7], s[8:9], s[8:9]
	s_xor_b32 exec_lo, exec_lo, s0
	s_cbranch_execz .LBB1_76
; %bb.75:
	s_mov_b32 s4, 0x6dc9c883
	s_mov_b32 s5, 0x3fe45f30
	;; [unrolled: 1-line block ×3, first 2 shown]
	v_mul_f64 v[45:46], |v[4:5]|, s[4:5]
	s_mov_b32 s4, 0x54442d18
	s_mov_b32 s5, 0xbff921fb
	;; [unrolled: 1-line block ×3, first 2 shown]
	s_delay_alu instid0(VALU_DEP_1) | instskip(NEXT) | instid1(VALU_DEP_1)
	v_rndne_f64_e32 v[45:46], v[45:46]
	v_fma_f64 v[51:52], v[45:46], s[4:5], |v[4:5]|
	v_mul_f64 v[53:54], v[45:46], s[10:11]
	s_mov_b32 s4, 0x252049c0
	s_mov_b32 s5, 0xb97b839a
	v_cvt_i32_f64_e32 v77, v[45:46]
	s_delay_alu instid0(VALU_DEP_3) | instskip(NEXT) | instid1(VALU_DEP_3)
	v_fma_f64 v[59:60], v[45:46], s[10:11], v[51:52]
	v_add_f64 v[55:56], v[51:52], v[53:54]
	s_mov_b32 s11, 0x3c91a626
	s_delay_alu instid0(VALU_DEP_1) | instskip(NEXT) | instid1(VALU_DEP_3)
	v_add_f64 v[51:52], v[51:52], -v[55:56]
	v_add_f64 v[55:56], v[55:56], -v[59:60]
	s_delay_alu instid0(VALU_DEP_2) | instskip(SKIP_1) | instid1(VALU_DEP_2)
	v_add_f64 v[51:52], v[51:52], v[53:54]
	v_fma_f64 v[53:54], v[45:46], s[10:11], v[53:54]
	v_add_f64 v[51:52], v[55:56], v[51:52]
	s_delay_alu instid0(VALU_DEP_1) | instskip(NEXT) | instid1(VALU_DEP_1)
	v_add_f64 v[51:52], v[51:52], -v[53:54]
	v_fma_f64 v[51:52], v[45:46], s[4:5], v[51:52]
	s_delay_alu instid0(VALU_DEP_1) | instskip(NEXT) | instid1(VALU_DEP_1)
	v_add_f64 v[57:58], v[59:60], v[51:52]
	v_add_f64 v[53:54], v[57:58], -v[59:60]
	s_delay_alu instid0(VALU_DEP_1)
	v_add_f64 v[59:60], v[51:52], -v[53:54]
.LBB1_76:
	s_or_b32 exec_lo, exec_lo, s0
	v_mul_f64 v[45:46], v[8:9], v[8:9]
	s_load_b64 s[0:1], s[16:17], 0x18
	s_mov_b32 s14, 0x9037ab78
	s_mov_b32 s16, 0x46cc5e42
	s_mov_b32 s15, 0x3e21eeb6
	s_mov_b32 s17, 0xbda907db
	s_mov_b32 s18, 0xa17f65f6
	s_mov_b32 s19, 0xbe927e4f
	s_mov_b32 s20, 0x19f4ec90
	s_mov_b32 s21, 0x3efa01a0
	s_mov_b32 s22, 0x16c16967
	s_mov_b32 s23, 0xbf56c16c
	s_mov_b32 s60, 0x55555555
	s_mov_b32 s61, 0x3fa55555
	s_mov_b32 s26, 0xb42fdfa7
	s_mov_b32 s28, 0xf9a43bb8
	s_mov_b32 s27, 0xbe5ae600
	s_mov_b32 s29, 0x3de5e0b2
	s_mov_b32 s30, 0x796cde01
	s_mov_b32 s31, 0x3ec71de3
	s_mov_b32 s34, 0x19e83e5c
	s_mov_b32 s35, 0xbf2a01a0
	s_mov_b32 s36, 0x11110bb3
	s_mov_b32 s37, 0x3f811111
	s_mov_b32 s39, 0xbfc55555
	s_mov_b32 s38, s60
	s_waitcnt lgkmcnt(0)
	v_writelane_b32 v184, s0, 2
	s_mov_b32 s89, 0x3fe55555
	s_mov_b32 s88, s60
	;; [unrolled: 1-line block ×4, first 2 shown]
	v_writelane_b32 v184, s1, 3
	v_cmp_lg_f64_e64 s1, 0x7ff00000, v[61:62]
	v_cmp_class_f64_e64 s0, v[4:5], 0x1f8
	s_mov_b32 s42, 0x4222de17
	s_mov_b32 s63, 0x3fba6564
	;; [unrolled: 1-line block ×4, first 2 shown]
	v_mul_f64 v[51:52], v[45:46], 0.5
	v_fma_f64 v[97:98], v[45:46], s[16:17], s[14:15]
	s_mov_b32 s58, 0xfefa39ef
	s_mov_b32 s45, 0x3fbe25e4
	;; [unrolled: 1-line block ×36, first 2 shown]
	v_add_f64 v[53:54], -v[51:52], 1.0
	v_fma_f64 v[97:98], v[45:46], v[97:98], s[18:19]
	s_mov_b32 s81, 0x3f2a01a0
	s_mov_b32 s82, 0x1852b7b0
	;; [unrolled: 1-line block ×11, first 2 shown]
	v_lshl_add_u32 v24, v25, 10, v24
	s_mov_b32 s96, 0x54442d18
	s_mov_b32 s102, 0x6dc9c883
	;; [unrolled: 1-line block ×4, first 2 shown]
	v_lshl_add_u32 v24, v24, 1, v24
	s_mov_b32 s100, 0x33145c07
	s_mov_b32 s103, 0x3fe45f30
	s_delay_alu instid0(VALU_DEP_4) | instskip(NEXT) | instid1(VALU_DEP_4)
	v_add_f64 v[55:56], -v[53:54], 1.0
	v_fma_f64 v[97:98], v[45:46], v[97:98], s[20:21]
	s_delay_alu instid0(VALU_DEP_2) | instskip(NEXT) | instid1(VALU_DEP_2)
	v_add_f64 v[51:52], v[55:56], -v[51:52]
	v_fma_f64 v[97:98], v[45:46], v[97:98], s[22:23]
	v_mul_f64 v[55:56], v[45:46], v[45:46]
	s_delay_alu instid0(VALU_DEP_3) | instskip(NEXT) | instid1(VALU_DEP_3)
	v_fma_f64 v[51:52], v[8:9], -v[81:82], v[51:52]
	v_fma_f64 v[97:98], v[45:46], v[97:98], s[60:61]
	s_delay_alu instid0(VALU_DEP_1) | instskip(SKIP_2) | instid1(VALU_DEP_3)
	v_fma_f64 v[51:52], v[55:56], v[97:98], v[51:52]
	v_mul_f64 v[55:56], v[8:9], -v[45:46]
	v_mul_f64 v[97:98], v[81:82], 0.5
	v_add_f64 v[51:52], v[53:54], v[51:52]
	v_fma_f64 v[53:54], v[45:46], s[28:29], s[26:27]
	s_delay_alu instid0(VALU_DEP_1) | instskip(NEXT) | instid1(VALU_DEP_1)
	v_fma_f64 v[53:54], v[45:46], v[53:54], s[30:31]
	v_fma_f64 v[53:54], v[45:46], v[53:54], s[34:35]
	s_delay_alu instid0(VALU_DEP_1) | instskip(NEXT) | instid1(VALU_DEP_1)
	v_fma_f64 v[53:54], v[45:46], v[53:54], s[36:37]
	v_fma_f64 v[53:54], v[55:56], v[53:54], v[97:98]
	s_delay_alu instid0(VALU_DEP_1) | instskip(NEXT) | instid1(VALU_DEP_1)
	v_fma_f64 v[45:46], v[45:46], v[53:54], -v[81:82]
	v_fma_f64 v[45:46], v[55:56], s[38:39], v[45:46]
	s_delay_alu instid0(VALU_DEP_1) | instskip(SKIP_1) | instid1(VALU_DEP_1)
	v_add_f64 v[8:9], v[8:9], -v[45:46]
	v_and_b32_e32 v45, 1, v96
	v_cmp_eq_u32_e32 vcc_lo, 0, v45
	v_lshlrev_b32_e32 v45, 30, v96
	s_delay_alu instid0(VALU_DEP_1) | instskip(NEXT) | instid1(VALU_DEP_1)
	v_xor_b32_e32 v45, s7, v45
	v_dual_cndmask_b32 v8, v51, v8 :: v_dual_and_b32 v45, 0x80000000, v45
	v_cndmask_b32_e32 v9, v52, v9, vcc_lo
	v_mul_f64 v[51:52], v[10:11], v[10:11]
	s_delay_alu instid0(VALU_DEP_2) | instskip(NEXT) | instid1(VALU_DEP_4)
	v_xor_b32_e32 v9, v9, v45
	v_cndmask_b32_e64 v45, 0, v8, s2
	v_cndmask_b32_e64 v8, v91, 0, s3
	s_delay_alu instid0(VALU_DEP_3) | instskip(SKIP_1) | instid1(VALU_DEP_1)
	v_cndmask_b32_e64 v46, 0x7ff80000, v9, s2
	v_cndmask_b32_e64 v9, v90, 0x7ff80000, s3
	v_bfi_b32 v9, 0x7fffffff, v9, v30
	v_mul_f64 v[53:54], v[51:52], 0.5
	v_fma_f64 v[81:82], v[51:52], s[16:17], s[14:15]
	s_delay_alu instid0(VALU_DEP_2) | instskip(NEXT) | instid1(VALU_DEP_2)
	v_add_f64 v[55:56], -v[53:54], 1.0
	v_fma_f64 v[81:82], v[51:52], v[81:82], s[18:19]
	s_delay_alu instid0(VALU_DEP_2) | instskip(NEXT) | instid1(VALU_DEP_2)
	v_add_f64 v[61:62], -v[55:56], 1.0
	v_fma_f64 v[81:82], v[51:52], v[81:82], s[20:21]
	s_delay_alu instid0(VALU_DEP_2) | instskip(NEXT) | instid1(VALU_DEP_2)
	v_add_f64 v[53:54], v[61:62], -v[53:54]
	v_fma_f64 v[81:82], v[51:52], v[81:82], s[22:23]
	v_mul_f64 v[61:62], v[51:52], v[51:52]
	s_delay_alu instid0(VALU_DEP_3) | instskip(NEXT) | instid1(VALU_DEP_3)
	v_fma_f64 v[53:54], v[10:11], -v[79:80], v[53:54]
	v_fma_f64 v[81:82], v[51:52], v[81:82], s[60:61]
	s_delay_alu instid0(VALU_DEP_1) | instskip(SKIP_2) | instid1(VALU_DEP_3)
	v_fma_f64 v[53:54], v[61:62], v[81:82], v[53:54]
	v_mul_f64 v[61:62], v[10:11], -v[51:52]
	v_mul_f64 v[81:82], v[79:80], 0.5
	v_add_f64 v[53:54], v[55:56], v[53:54]
	v_fma_f64 v[55:56], v[51:52], s[28:29], s[26:27]
	s_delay_alu instid0(VALU_DEP_1) | instskip(NEXT) | instid1(VALU_DEP_1)
	v_fma_f64 v[55:56], v[51:52], v[55:56], s[30:31]
	v_fma_f64 v[55:56], v[51:52], v[55:56], s[34:35]
	s_delay_alu instid0(VALU_DEP_1) | instskip(NEXT) | instid1(VALU_DEP_1)
	v_fma_f64 v[55:56], v[51:52], v[55:56], s[36:37]
	v_fma_f64 v[55:56], v[61:62], v[55:56], v[81:82]
	s_delay_alu instid0(VALU_DEP_1) | instskip(NEXT) | instid1(VALU_DEP_1)
	v_fma_f64 v[51:52], v[51:52], v[55:56], -v[79:80]
	v_fma_f64 v[51:52], v[61:62], s[38:39], v[51:52]
	s_delay_alu instid0(VALU_DEP_1) | instskip(SKIP_1) | instid1(VALU_DEP_1)
	v_add_f64 v[10:11], v[10:11], -v[51:52]
	v_and_b32_e32 v51, 1, v95
	v_cmp_eq_u32_e32 vcc_lo, 0, v51
	v_lshlrev_b32_e32 v51, 30, v95
	s_delay_alu instid0(VALU_DEP_1) | instskip(NEXT) | instid1(VALU_DEP_1)
	v_xor_b32_e32 v51, v51, v9
	v_and_b32_e32 v51, 0x80000000, v51
	v_dual_cndmask_b32 v11, v54, v11 :: v_dual_cndmask_b32 v10, v53, v10
	s_delay_alu instid0(VALU_DEP_1) | instskip(NEXT) | instid1(VALU_DEP_2)
	v_xor_b32_e32 v11, v11, v51
	v_cndmask_b32_e64 v10, 0, v10, s1
	s_delay_alu instid0(VALU_DEP_2) | instskip(NEXT) | instid1(VALU_DEP_1)
	v_cndmask_b32_e64 v11, 0x7ff80000, v11, s1
	v_mul_f64 v[51:52], -v[45:46], v[10:11]
	v_fma_f64 v[10:11], v[2:3], v[2:3], v[6:7]
	v_mul_f64 v[45:46], v[2:3], v[2:3]
	s_delay_alu instid0(VALU_DEP_2) | instskip(SKIP_1) | instid1(VALU_DEP_1)
	v_cmp_gt_f64_e32 vcc_lo, 0x10000000, v[10:11]
	v_cndmask_b32_e64 v53, 0, 1, vcc_lo
	v_lshlrev_b32_e32 v53, 8, v53
	s_delay_alu instid0(VALU_DEP_1) | instskip(NEXT) | instid1(VALU_DEP_1)
	v_ldexp_f64 v[10:11], v[10:11], v53
	v_rsq_f64_e32 v[53:54], v[10:11]
	s_waitcnt_depctr 0xfff
	v_mul_f64 v[55:56], v[10:11], v[53:54]
	v_mul_f64 v[53:54], v[53:54], 0.5
	s_delay_alu instid0(VALU_DEP_1) | instskip(NEXT) | instid1(VALU_DEP_1)
	v_fma_f64 v[61:62], -v[53:54], v[55:56], 0.5
	v_fma_f64 v[55:56], v[55:56], v[61:62], v[55:56]
	v_fma_f64 v[53:54], v[53:54], v[61:62], v[53:54]
	s_delay_alu instid0(VALU_DEP_2) | instskip(NEXT) | instid1(VALU_DEP_1)
	v_fma_f64 v[79:80], -v[55:56], v[55:56], v[10:11]
	v_fma_f64 v[55:56], v[79:80], v[53:54], v[55:56]
	s_delay_alu instid0(VALU_DEP_1) | instskip(NEXT) | instid1(VALU_DEP_1)
	v_fma_f64 v[61:62], -v[55:56], v[55:56], v[10:11]
	v_fma_f64 v[53:54], v[61:62], v[53:54], v[55:56]
	v_cndmask_b32_e64 v55, 0, 0xffffff80, vcc_lo
	v_cmp_class_f64_e64 vcc_lo, v[10:11], 0x260
	s_delay_alu instid0(VALU_DEP_2) | instskip(NEXT) | instid1(VALU_DEP_1)
	v_ldexp_f64 v[53:54], v[53:54], v55
	v_dual_cndmask_b32 v11, v54, v11 :: v_dual_cndmask_b32 v10, v53, v10
	v_mul_f64 v[53:54], v[12:13], v[12:13]
	s_delay_alu instid0(VALU_DEP_1) | instskip(SKIP_1) | instid1(VALU_DEP_2)
	v_mul_f64 v[55:56], v[53:54], 0.5
	v_fma_f64 v[81:82], v[53:54], s[16:17], s[14:15]
	v_add_f64 v[61:62], -v[55:56], 1.0
	s_delay_alu instid0(VALU_DEP_2) | instskip(NEXT) | instid1(VALU_DEP_2)
	v_fma_f64 v[81:82], v[53:54], v[81:82], s[18:19]
	v_add_f64 v[79:80], -v[61:62], 1.0
	s_delay_alu instid0(VALU_DEP_2) | instskip(NEXT) | instid1(VALU_DEP_2)
	v_fma_f64 v[81:82], v[53:54], v[81:82], s[20:21]
	v_add_f64 v[55:56], v[79:80], -v[55:56]
	s_delay_alu instid0(VALU_DEP_2) | instskip(SKIP_1) | instid1(VALU_DEP_3)
	v_fma_f64 v[81:82], v[53:54], v[81:82], s[22:23]
	v_mul_f64 v[79:80], v[53:54], v[53:54]
	v_fma_f64 v[55:56], v[12:13], -v[75:76], v[55:56]
	s_delay_alu instid0(VALU_DEP_3) | instskip(NEXT) | instid1(VALU_DEP_1)
	v_fma_f64 v[81:82], v[53:54], v[81:82], s[60:61]
	v_fma_f64 v[55:56], v[79:80], v[81:82], v[55:56]
	v_mul_f64 v[79:80], v[12:13], -v[53:54]
	v_mul_f64 v[81:82], v[75:76], 0.5
	s_delay_alu instid0(VALU_DEP_3) | instskip(SKIP_1) | instid1(VALU_DEP_1)
	v_add_f64 v[55:56], v[61:62], v[55:56]
	v_fma_f64 v[61:62], v[53:54], s[28:29], s[26:27]
	v_fma_f64 v[61:62], v[53:54], v[61:62], s[30:31]
	s_delay_alu instid0(VALU_DEP_1) | instskip(NEXT) | instid1(VALU_DEP_1)
	v_fma_f64 v[61:62], v[53:54], v[61:62], s[34:35]
	v_fma_f64 v[61:62], v[53:54], v[61:62], s[36:37]
	s_delay_alu instid0(VALU_DEP_1) | instskip(NEXT) | instid1(VALU_DEP_1)
	v_fma_f64 v[61:62], v[79:80], v[61:62], v[81:82]
	v_fma_f64 v[53:54], v[53:54], v[61:62], -v[75:76]
	s_delay_alu instid0(VALU_DEP_1) | instskip(NEXT) | instid1(VALU_DEP_1)
	v_fma_f64 v[53:54], v[79:80], s[38:39], v[53:54]
	v_add_f64 v[12:13], v[12:13], -v[53:54]
	v_and_b32_e32 v53, 1, v78
	s_delay_alu instid0(VALU_DEP_1) | instskip(SKIP_1) | instid1(VALU_DEP_1)
	v_cmp_eq_u32_e32 vcc_lo, 0, v53
	v_lshlrev_b32_e32 v53, 30, v78
	v_xor_b32_e32 v53, v53, v5
	s_delay_alu instid0(VALU_DEP_1) | instskip(SKIP_1) | instid1(VALU_DEP_1)
	v_and_b32_e32 v53, 0x80000000, v53
	v_dual_cndmask_b32 v13, v56, v13 :: v_dual_cndmask_b32 v12, v55, v12
	v_xor_b32_e32 v13, v13, v53
	s_delay_alu instid0(VALU_DEP_2) | instskip(NEXT) | instid1(VALU_DEP_2)
	v_cndmask_b32_e64 v12, 0, v12, s0
	v_cndmask_b32_e64 v13, 0x7ff80000, v13, s0
	s_delay_alu instid0(VALU_DEP_1) | instskip(NEXT) | instid1(VALU_DEP_1)
	v_mul_f64 v[12:13], v[10:11], v[12:13]
	v_div_scale_f64 v[53:54], null, v[12:13], v[12:13], v[51:52]
	s_delay_alu instid0(VALU_DEP_1) | instskip(SKIP_2) | instid1(VALU_DEP_1)
	v_rcp_f64_e32 v[55:56], v[53:54]
	s_waitcnt_depctr 0xfff
	v_fma_f64 v[61:62], -v[53:54], v[55:56], 1.0
	v_fma_f64 v[55:56], v[55:56], v[61:62], v[55:56]
	s_delay_alu instid0(VALU_DEP_1) | instskip(NEXT) | instid1(VALU_DEP_1)
	v_fma_f64 v[61:62], -v[53:54], v[55:56], 1.0
	v_fma_f64 v[55:56], v[55:56], v[61:62], v[55:56]
	v_div_scale_f64 v[61:62], vcc_lo, v[51:52], v[12:13], v[51:52]
	s_delay_alu instid0(VALU_DEP_1) | instskip(NEXT) | instid1(VALU_DEP_1)
	v_mul_f64 v[75:76], v[61:62], v[55:56]
	v_fma_f64 v[53:54], -v[53:54], v[75:76], v[61:62]
	s_delay_alu instid0(VALU_DEP_1) | instskip(NEXT) | instid1(VALU_DEP_1)
	v_div_fmas_f64 v[53:54], v[53:54], v[55:56], v[75:76]
	v_div_fixup_f64 v[51:52], v[53:54], v[12:13], v[51:52]
	v_mul_f64 v[12:13], v[71:72], v[71:72]
	s_delay_alu instid0(VALU_DEP_1) | instskip(SKIP_1) | instid1(VALU_DEP_2)
	v_mul_f64 v[53:54], v[12:13], 0.5
	v_fma_f64 v[75:76], v[12:13], s[16:17], s[14:15]
	v_add_f64 v[55:56], -v[53:54], 1.0
	s_delay_alu instid0(VALU_DEP_2) | instskip(NEXT) | instid1(VALU_DEP_2)
	v_fma_f64 v[75:76], v[12:13], v[75:76], s[18:19]
	v_add_f64 v[61:62], -v[55:56], 1.0
	s_delay_alu instid0(VALU_DEP_2) | instskip(NEXT) | instid1(VALU_DEP_2)
	v_fma_f64 v[75:76], v[12:13], v[75:76], s[20:21]
	v_add_f64 v[53:54], v[61:62], -v[53:54]
	s_delay_alu instid0(VALU_DEP_2) | instskip(SKIP_1) | instid1(VALU_DEP_3)
	v_fma_f64 v[75:76], v[12:13], v[75:76], s[22:23]
	v_mul_f64 v[61:62], v[12:13], v[12:13]
	v_fma_f64 v[53:54], v[71:72], -v[73:74], v[53:54]
	s_delay_alu instid0(VALU_DEP_3) | instskip(NEXT) | instid1(VALU_DEP_1)
	v_fma_f64 v[75:76], v[12:13], v[75:76], s[60:61]
	v_fma_f64 v[53:54], v[61:62], v[75:76], v[53:54]
	v_mul_f64 v[61:62], v[71:72], -v[12:13]
	v_mul_f64 v[75:76], v[73:74], 0.5
	s_delay_alu instid0(VALU_DEP_3) | instskip(SKIP_1) | instid1(VALU_DEP_1)
	v_add_f64 v[53:54], v[55:56], v[53:54]
	v_fma_f64 v[55:56], v[12:13], s[28:29], s[26:27]
	v_fma_f64 v[55:56], v[12:13], v[55:56], s[30:31]
	s_delay_alu instid0(VALU_DEP_1) | instskip(NEXT) | instid1(VALU_DEP_1)
	v_fma_f64 v[55:56], v[12:13], v[55:56], s[34:35]
	v_fma_f64 v[55:56], v[12:13], v[55:56], s[36:37]
	s_delay_alu instid0(VALU_DEP_1) | instskip(NEXT) | instid1(VALU_DEP_1)
	v_fma_f64 v[55:56], v[61:62], v[55:56], v[75:76]
	v_fma_f64 v[12:13], v[12:13], v[55:56], -v[73:74]
	v_and_b32_e32 v55, 1, v94
	s_delay_alu instid0(VALU_DEP_1) | instskip(NEXT) | instid1(VALU_DEP_3)
	v_cmp_eq_u32_e32 vcc_lo, 0, v55
	v_fma_f64 v[12:13], v[61:62], s[38:39], v[12:13]
	s_delay_alu instid0(VALU_DEP_1) | instskip(NEXT) | instid1(VALU_DEP_1)
	v_add_f64 v[12:13], v[71:72], -v[12:13]
	v_xor_b32_e32 v13, 0x80000000, v13
	s_delay_alu instid0(VALU_DEP_2) | instskip(NEXT) | instid1(VALU_DEP_2)
	v_dual_cndmask_b32 v12, v12, v53 :: v_dual_lshlrev_b32 v53, 30, v94
	v_cndmask_b32_e32 v13, v13, v54, vcc_lo
	s_delay_alu instid0(VALU_DEP_2) | instskip(NEXT) | instid1(VALU_DEP_3)
	v_cndmask_b32_e64 v12, 0, v12, s2
	v_and_b32_e32 v53, 0x80000000, v53
	s_delay_alu instid0(VALU_DEP_1) | instskip(NEXT) | instid1(VALU_DEP_1)
	v_xor_b32_e32 v13, v13, v53
	v_cndmask_b32_e64 v13, 0x7ff80000, v13, s2
	s_delay_alu instid0(VALU_DEP_1) | instskip(SKIP_1) | instid1(VALU_DEP_1)
	v_mul_f64 v[53:54], v[2:3], v[12:13]
	v_mul_f64 v[12:13], v[22:23], v[22:23]
	v_mul_f64 v[55:56], v[12:13], 0.5
	v_fma_f64 v[73:74], v[12:13], s[16:17], s[14:15]
	s_delay_alu instid0(VALU_DEP_2) | instskip(NEXT) | instid1(VALU_DEP_2)
	v_add_f64 v[61:62], -v[55:56], 1.0
	v_fma_f64 v[73:74], v[12:13], v[73:74], s[18:19]
	s_delay_alu instid0(VALU_DEP_2) | instskip(NEXT) | instid1(VALU_DEP_2)
	v_add_f64 v[71:72], -v[61:62], 1.0
	v_fma_f64 v[73:74], v[12:13], v[73:74], s[20:21]
	s_delay_alu instid0(VALU_DEP_2) | instskip(NEXT) | instid1(VALU_DEP_2)
	v_add_f64 v[55:56], v[71:72], -v[55:56]
	v_fma_f64 v[73:74], v[12:13], v[73:74], s[22:23]
	v_mul_f64 v[71:72], v[12:13], v[12:13]
	s_delay_alu instid0(VALU_DEP_3) | instskip(NEXT) | instid1(VALU_DEP_3)
	v_fma_f64 v[55:56], v[22:23], -v[31:32], v[55:56]
	v_fma_f64 v[73:74], v[12:13], v[73:74], s[60:61]
	s_delay_alu instid0(VALU_DEP_1) | instskip(SKIP_2) | instid1(VALU_DEP_3)
	v_fma_f64 v[55:56], v[71:72], v[73:74], v[55:56]
	v_mul_f64 v[71:72], v[22:23], -v[12:13]
	v_mul_f64 v[73:74], v[31:32], 0.5
	v_add_f64 v[55:56], v[61:62], v[55:56]
	v_fma_f64 v[61:62], v[12:13], s[28:29], s[26:27]
	s_delay_alu instid0(VALU_DEP_1) | instskip(NEXT) | instid1(VALU_DEP_1)
	v_fma_f64 v[61:62], v[12:13], v[61:62], s[30:31]
	v_fma_f64 v[61:62], v[12:13], v[61:62], s[34:35]
	s_delay_alu instid0(VALU_DEP_1) | instskip(NEXT) | instid1(VALU_DEP_1)
	v_fma_f64 v[61:62], v[12:13], v[61:62], s[36:37]
	v_fma_f64 v[61:62], v[71:72], v[61:62], v[73:74]
	s_delay_alu instid0(VALU_DEP_1) | instskip(NEXT) | instid1(VALU_DEP_1)
	v_fma_f64 v[12:13], v[12:13], v[61:62], -v[31:32]
	v_fma_f64 v[12:13], v[71:72], s[38:39], v[12:13]
	s_delay_alu instid0(VALU_DEP_1) | instskip(SKIP_1) | instid1(VALU_DEP_1)
	v_add_f64 v[12:13], v[22:23], -v[12:13]
	v_and_b32_e32 v22, 1, v84
	v_cmp_eq_u32_e32 vcc_lo, 0, v22
	v_lshlrev_b32_e32 v22, 30, v84
	s_delay_alu instid0(VALU_DEP_1) | instskip(NEXT) | instid1(VALU_DEP_1)
	v_xor_b32_e32 v22, s7, v22
	v_dual_cndmask_b32 v13, v56, v13 :: v_dual_and_b32 v22, 0x80000000, v22
	v_cndmask_b32_e32 v12, v55, v12, vcc_lo
	s_delay_alu instid0(VALU_DEP_2) | instskip(SKIP_1) | instid1(VALU_DEP_3)
	v_xor_b32_e32 v13, v13, v22
	v_mul_f64 v[22:23], v[47:48], v[47:48]
	v_cndmask_b32_e64 v12, 0, v12, s2
	s_delay_alu instid0(VALU_DEP_3) | instskip(NEXT) | instid1(VALU_DEP_3)
	v_cndmask_b32_e64 v13, 0x7ff80000, v13, s2
	v_mul_f64 v[31:32], v[22:23], 0.5
	v_fma_f64 v[71:72], v[22:23], s[16:17], s[14:15]
	s_delay_alu instid0(VALU_DEP_2) | instskip(NEXT) | instid1(VALU_DEP_2)
	v_add_f64 v[55:56], -v[31:32], 1.0
	v_fma_f64 v[71:72], v[22:23], v[71:72], s[18:19]
	s_delay_alu instid0(VALU_DEP_2) | instskip(NEXT) | instid1(VALU_DEP_2)
	v_add_f64 v[61:62], -v[55:56], 1.0
	v_fma_f64 v[71:72], v[22:23], v[71:72], s[20:21]
	s_delay_alu instid0(VALU_DEP_2) | instskip(NEXT) | instid1(VALU_DEP_2)
	v_add_f64 v[31:32], v[61:62], -v[31:32]
	v_fma_f64 v[71:72], v[22:23], v[71:72], s[22:23]
	v_mul_f64 v[61:62], v[22:23], v[22:23]
	s_delay_alu instid0(VALU_DEP_3) | instskip(NEXT) | instid1(VALU_DEP_3)
	v_fma_f64 v[31:32], v[47:48], -v[49:50], v[31:32]
	v_fma_f64 v[71:72], v[22:23], v[71:72], s[60:61]
	s_delay_alu instid0(VALU_DEP_1) | instskip(SKIP_2) | instid1(VALU_DEP_3)
	v_fma_f64 v[31:32], v[61:62], v[71:72], v[31:32]
	v_mul_f64 v[61:62], v[47:48], -v[22:23]
	v_mul_f64 v[71:72], v[49:50], 0.5
	v_add_f64 v[31:32], v[55:56], v[31:32]
	v_fma_f64 v[55:56], v[22:23], s[28:29], s[26:27]
	s_delay_alu instid0(VALU_DEP_1) | instskip(NEXT) | instid1(VALU_DEP_1)
	v_fma_f64 v[55:56], v[22:23], v[55:56], s[30:31]
	v_fma_f64 v[55:56], v[22:23], v[55:56], s[34:35]
	s_delay_alu instid0(VALU_DEP_1) | instskip(NEXT) | instid1(VALU_DEP_1)
	v_fma_f64 v[55:56], v[22:23], v[55:56], s[36:37]
	v_fma_f64 v[55:56], v[61:62], v[55:56], v[71:72]
	s_delay_alu instid0(VALU_DEP_1) | instskip(NEXT) | instid1(VALU_DEP_1)
	v_fma_f64 v[22:23], v[22:23], v[55:56], -v[49:50]
	v_fma_f64 v[22:23], v[61:62], s[38:39], v[22:23]
	s_delay_alu instid0(VALU_DEP_1) | instskip(SKIP_1) | instid1(VALU_DEP_1)
	v_add_f64 v[22:23], v[47:48], -v[22:23]
	v_and_b32_e32 v47, 1, v88
	v_cmp_eq_u32_e32 vcc_lo, 0, v47
	s_delay_alu instid0(VALU_DEP_3) | instskip(NEXT) | instid1(VALU_DEP_4)
	v_xor_b32_e32 v23, 0x80000000, v23
	v_dual_cndmask_b32 v22, v22, v31 :: v_dual_lshlrev_b32 v31, 30, v88
	s_delay_alu instid0(VALU_DEP_2) | instskip(NEXT) | instid1(VALU_DEP_2)
	v_cndmask_b32_e32 v23, v23, v32, vcc_lo
	v_cndmask_b32_e64 v22, 0, v22, s1
	s_delay_alu instid0(VALU_DEP_3) | instskip(NEXT) | instid1(VALU_DEP_1)
	v_and_b32_e32 v31, 0x80000000, v31
	v_xor_b32_e32 v23, v23, v31
	s_delay_alu instid0(VALU_DEP_1) | instskip(NEXT) | instid1(VALU_DEP_1)
	v_cndmask_b32_e64 v23, 0x7ff80000, v23, s1
	v_mul_f64 v[12:13], -v[12:13], v[22:23]
	v_mul_f64 v[22:23], v[67:68], v[67:68]
	s_delay_alu instid0(VALU_DEP_1) | instskip(SKIP_1) | instid1(VALU_DEP_2)
	v_mul_f64 v[31:32], v[22:23], 0.5
	v_fma_f64 v[55:56], v[22:23], s[16:17], s[14:15]
	v_add_f64 v[47:48], -v[31:32], 1.0
	s_delay_alu instid0(VALU_DEP_2) | instskip(NEXT) | instid1(VALU_DEP_2)
	v_fma_f64 v[55:56], v[22:23], v[55:56], s[18:19]
	v_add_f64 v[49:50], -v[47:48], 1.0
	s_delay_alu instid0(VALU_DEP_2) | instskip(NEXT) | instid1(VALU_DEP_2)
	v_fma_f64 v[55:56], v[22:23], v[55:56], s[20:21]
	v_add_f64 v[31:32], v[49:50], -v[31:32]
	s_delay_alu instid0(VALU_DEP_2) | instskip(SKIP_1) | instid1(VALU_DEP_3)
	v_fma_f64 v[55:56], v[22:23], v[55:56], s[22:23]
	v_mul_f64 v[49:50], v[22:23], v[22:23]
	v_fma_f64 v[31:32], v[67:68], -v[69:70], v[31:32]
	s_delay_alu instid0(VALU_DEP_3) | instskip(NEXT) | instid1(VALU_DEP_1)
	v_fma_f64 v[55:56], v[22:23], v[55:56], s[60:61]
	v_fma_f64 v[31:32], v[49:50], v[55:56], v[31:32]
	v_mul_f64 v[49:50], v[67:68], -v[22:23]
	v_mul_f64 v[55:56], v[69:70], 0.5
	s_delay_alu instid0(VALU_DEP_3) | instskip(SKIP_1) | instid1(VALU_DEP_1)
	v_add_f64 v[31:32], v[47:48], v[31:32]
	v_fma_f64 v[47:48], v[22:23], s[28:29], s[26:27]
	v_fma_f64 v[47:48], v[22:23], v[47:48], s[30:31]
	s_delay_alu instid0(VALU_DEP_1) | instskip(NEXT) | instid1(VALU_DEP_1)
	v_fma_f64 v[47:48], v[22:23], v[47:48], s[34:35]
	v_fma_f64 v[47:48], v[22:23], v[47:48], s[36:37]
	s_delay_alu instid0(VALU_DEP_1) | instskip(NEXT) | instid1(VALU_DEP_1)
	v_fma_f64 v[47:48], v[49:50], v[47:48], v[55:56]
	v_fma_f64 v[22:23], v[22:23], v[47:48], -v[69:70]
	v_and_b32_e32 v47, 1, v93
	s_delay_alu instid0(VALU_DEP_1) | instskip(SKIP_1) | instid1(VALU_DEP_4)
	v_cmp_eq_u32_e32 vcc_lo, 0, v47
	v_mul_f64 v[47:48], v[14:15], v[14:15]
	v_fma_f64 v[22:23], v[49:50], s[38:39], v[22:23]
	s_delay_alu instid0(VALU_DEP_2) | instskip(NEXT) | instid1(VALU_DEP_2)
	v_mul_f64 v[49:50], v[47:48], 0.5
	v_add_f64 v[22:23], v[67:68], -v[22:23]
	v_fma_f64 v[67:68], v[47:48], s[16:17], s[14:15]
	s_delay_alu instid0(VALU_DEP_3) | instskip(NEXT) | instid1(VALU_DEP_3)
	v_add_f64 v[55:56], -v[49:50], 1.0
	v_cndmask_b32_e32 v22, v31, v22, vcc_lo
	s_delay_alu instid0(VALU_DEP_3) | instskip(SKIP_2) | instid1(VALU_DEP_4)
	v_fma_f64 v[67:68], v[47:48], v[67:68], s[18:19]
	v_cndmask_b32_e32 v23, v32, v23, vcc_lo
	v_lshlrev_b32_e32 v31, 30, v93
	v_cndmask_b32_e64 v22, 0, v22, s0
	v_add_f64 v[61:62], -v[55:56], 1.0
	s_delay_alu instid0(VALU_DEP_3) | instskip(NEXT) | instid1(VALU_DEP_1)
	v_xor_b32_e32 v31, v31, v5
	v_and_b32_e32 v31, 0x80000000, v31
	v_fma_f64 v[67:68], v[47:48], v[67:68], s[20:21]
	s_delay_alu instid0(VALU_DEP_4) | instskip(SKIP_1) | instid1(VALU_DEP_3)
	v_add_f64 v[49:50], v[61:62], -v[49:50]
	v_mul_f64 v[61:62], v[47:48], v[47:48]
	v_fma_f64 v[67:68], v[47:48], v[67:68], s[22:23]
	s_delay_alu instid0(VALU_DEP_3) | instskip(NEXT) | instid1(VALU_DEP_2)
	v_fma_f64 v[49:50], v[14:15], -v[16:17], v[49:50]
	v_fma_f64 v[67:68], v[47:48], v[67:68], s[60:61]
	s_delay_alu instid0(VALU_DEP_1) | instskip(SKIP_2) | instid1(VALU_DEP_3)
	v_fma_f64 v[49:50], v[61:62], v[67:68], v[49:50]
	v_mul_f64 v[61:62], v[14:15], -v[47:48]
	v_mul_f64 v[67:68], v[16:17], 0.5
	v_add_f64 v[49:50], v[55:56], v[49:50]
	v_fma_f64 v[55:56], v[47:48], s[28:29], s[26:27]
	s_delay_alu instid0(VALU_DEP_1) | instskip(NEXT) | instid1(VALU_DEP_1)
	v_fma_f64 v[55:56], v[47:48], v[55:56], s[30:31]
	v_fma_f64 v[55:56], v[47:48], v[55:56], s[34:35]
	s_delay_alu instid0(VALU_DEP_1) | instskip(NEXT) | instid1(VALU_DEP_1)
	v_fma_f64 v[55:56], v[47:48], v[55:56], s[36:37]
	v_fma_f64 v[55:56], v[61:62], v[55:56], v[67:68]
	s_delay_alu instid0(VALU_DEP_1) | instskip(NEXT) | instid1(VALU_DEP_1)
	v_fma_f64 v[16:17], v[47:48], v[55:56], -v[16:17]
	v_fma_f64 v[16:17], v[61:62], s[38:39], v[16:17]
	s_delay_alu instid0(VALU_DEP_1) | instskip(SKIP_1) | instid1(VALU_DEP_1)
	v_add_f64 v[14:15], v[14:15], -v[16:17]
	v_and_b32_e32 v16, 1, v26
	v_cmp_eq_u32_e32 vcc_lo, 0, v16
	v_lshlrev_b32_e32 v16, 30, v26
	v_and_b32_e32 v26, 1, v85
	s_delay_alu instid0(VALU_DEP_2) | instskip(SKIP_1) | instid1(VALU_DEP_1)
	v_and_b32_e32 v16, 0x80000000, v16
	v_xor_b32_e32 v15, 0x80000000, v15
	v_dual_cndmask_b32 v14, v14, v49 :: v_dual_cndmask_b32 v15, v15, v50
	s_delay_alu instid0(VALU_DEP_1) | instskip(NEXT) | instid1(VALU_DEP_2)
	v_cndmask_b32_e64 v14, 0, v14, s0
	v_xor_b32_e32 v15, v15, v16
	v_mul_f64 v[16:17], v[18:19], v[18:19]
	s_delay_alu instid0(VALU_DEP_2) | instskip(NEXT) | instid1(VALU_DEP_1)
	v_cndmask_b32_e64 v15, 0x7ff80000, v15, s0
	v_mul_f64 v[14:15], s[8:9], v[14:15]
	s_delay_alu instid0(VALU_DEP_3) | instskip(SKIP_1) | instid1(VALU_DEP_2)
	v_mul_f64 v[47:48], v[16:17], 0.5
	v_fma_f64 v[61:62], v[16:17], s[16:17], s[14:15]
	v_add_f64 v[49:50], -v[47:48], 1.0
	s_delay_alu instid0(VALU_DEP_2) | instskip(NEXT) | instid1(VALU_DEP_2)
	v_fma_f64 v[61:62], v[16:17], v[61:62], s[18:19]
	v_add_f64 v[55:56], -v[49:50], 1.0
	s_delay_alu instid0(VALU_DEP_2) | instskip(NEXT) | instid1(VALU_DEP_2)
	v_fma_f64 v[61:62], v[16:17], v[61:62], s[20:21]
	v_add_f64 v[47:48], v[55:56], -v[47:48]
	s_delay_alu instid0(VALU_DEP_2) | instskip(SKIP_1) | instid1(VALU_DEP_3)
	v_fma_f64 v[61:62], v[16:17], v[61:62], s[22:23]
	v_mul_f64 v[55:56], v[16:17], v[16:17]
	v_fma_f64 v[47:48], v[18:19], -v[20:21], v[47:48]
	s_delay_alu instid0(VALU_DEP_3) | instskip(NEXT) | instid1(VALU_DEP_1)
	v_fma_f64 v[61:62], v[16:17], v[61:62], s[60:61]
	v_fma_f64 v[47:48], v[55:56], v[61:62], v[47:48]
	v_mul_f64 v[55:56], v[18:19], -v[16:17]
	v_mul_f64 v[61:62], v[20:21], 0.5
	s_delay_alu instid0(VALU_DEP_3) | instskip(SKIP_1) | instid1(VALU_DEP_1)
	v_add_f64 v[47:48], v[49:50], v[47:48]
	v_fma_f64 v[49:50], v[16:17], s[28:29], s[26:27]
	v_fma_f64 v[49:50], v[16:17], v[49:50], s[30:31]
	s_delay_alu instid0(VALU_DEP_1) | instskip(NEXT) | instid1(VALU_DEP_1)
	v_fma_f64 v[49:50], v[16:17], v[49:50], s[34:35]
	v_fma_f64 v[49:50], v[16:17], v[49:50], s[36:37]
	s_delay_alu instid0(VALU_DEP_1) | instskip(NEXT) | instid1(VALU_DEP_1)
	v_fma_f64 v[49:50], v[55:56], v[49:50], v[61:62]
	v_fma_f64 v[16:17], v[16:17], v[49:50], -v[20:21]
	s_delay_alu instid0(VALU_DEP_1) | instskip(NEXT) | instid1(VALU_DEP_1)
	v_fma_f64 v[16:17], v[55:56], s[38:39], v[16:17]
	v_add_f64 v[16:17], v[18:19], -v[16:17]
	v_and_b32_e32 v18, 1, v83
	s_delay_alu instid0(VALU_DEP_1) | instskip(SKIP_1) | instid1(VALU_DEP_1)
	v_cmp_eq_u32_e32 vcc_lo, 0, v18
	v_lshlrev_b32_e32 v18, 30, v83
	v_and_b32_e32 v18, 0x80000000, v18
	v_xor_b32_e32 v23, v23, v31
	v_mul_f64 v[31:32], v[10:11], v[12:13]
	s_delay_alu instid0(VALU_DEP_2) | instskip(SKIP_1) | instid1(VALU_DEP_1)
	v_cndmask_b32_e64 v23, 0x7ff80000, v23, s0
	v_xor_b32_e32 v17, 0x80000000, v17
	v_dual_cndmask_b32 v16, v16, v47 :: v_dual_cndmask_b32 v17, v17, v48
	s_delay_alu instid0(VALU_DEP_1) | instskip(NEXT) | instid1(VALU_DEP_2)
	v_cndmask_b32_e64 v16, 0, v16, s0
	v_xor_b32_e32 v17, v17, v18
	s_delay_alu instid0(VALU_DEP_1) | instskip(NEXT) | instid1(VALU_DEP_1)
	v_cndmask_b32_e64 v17, 0x7ff80000, v17, s0
	v_mul_f64 v[16:17], s[8:9], v[16:17]
	s_delay_alu instid0(VALU_DEP_1) | instskip(SKIP_1) | instid1(VALU_DEP_1)
	v_fma_f64 v[18:19], v[14:15], v[16:17], v[45:46]
	v_mul_f64 v[14:15], v[63:64], v[63:64]
	v_mul_f64 v[16:17], v[14:15], 0.5
	v_fma_f64 v[49:50], v[14:15], s[16:17], s[14:15]
	s_delay_alu instid0(VALU_DEP_2) | instskip(NEXT) | instid1(VALU_DEP_2)
	v_add_f64 v[20:21], -v[16:17], 1.0
	v_fma_f64 v[49:50], v[14:15], v[49:50], s[18:19]
	s_delay_alu instid0(VALU_DEP_2) | instskip(NEXT) | instid1(VALU_DEP_2)
	v_add_f64 v[47:48], -v[20:21], 1.0
	v_fma_f64 v[49:50], v[14:15], v[49:50], s[20:21]
	s_delay_alu instid0(VALU_DEP_2) | instskip(NEXT) | instid1(VALU_DEP_2)
	v_add_f64 v[16:17], v[47:48], -v[16:17]
	v_fma_f64 v[49:50], v[14:15], v[49:50], s[22:23]
	v_mul_f64 v[47:48], v[14:15], v[14:15]
	s_delay_alu instid0(VALU_DEP_3) | instskip(NEXT) | instid1(VALU_DEP_3)
	v_fma_f64 v[16:17], v[63:64], -v[65:66], v[16:17]
	v_fma_f64 v[49:50], v[14:15], v[49:50], s[60:61]
	s_delay_alu instid0(VALU_DEP_1) | instskip(SKIP_2) | instid1(VALU_DEP_3)
	v_fma_f64 v[16:17], v[47:48], v[49:50], v[16:17]
	v_mul_f64 v[47:48], v[63:64], -v[14:15]
	v_mul_f64 v[49:50], v[65:66], 0.5
	v_add_f64 v[16:17], v[20:21], v[16:17]
	v_fma_f64 v[20:21], v[14:15], s[28:29], s[26:27]
	s_delay_alu instid0(VALU_DEP_1) | instskip(NEXT) | instid1(VALU_DEP_1)
	v_fma_f64 v[20:21], v[14:15], v[20:21], s[30:31]
	v_fma_f64 v[20:21], v[14:15], v[20:21], s[34:35]
	s_delay_alu instid0(VALU_DEP_1) | instskip(NEXT) | instid1(VALU_DEP_1)
	v_fma_f64 v[20:21], v[14:15], v[20:21], s[36:37]
	v_fma_f64 v[20:21], v[47:48], v[20:21], v[49:50]
	s_delay_alu instid0(VALU_DEP_1) | instskip(NEXT) | instid1(VALU_DEP_1)
	v_fma_f64 v[14:15], v[14:15], v[20:21], -v[65:66]
	v_fma_f64 v[14:15], v[47:48], s[38:39], v[14:15]
	s_delay_alu instid0(VALU_DEP_1) | instskip(NEXT) | instid1(VALU_DEP_1)
	v_add_f64 v[14:15], v[63:64], -v[14:15]
	v_xor_b32_e32 v15, 0x80000000, v15
	v_and_b32_e32 v20, 1, v92
	s_delay_alu instid0(VALU_DEP_1) | instskip(NEXT) | instid1(VALU_DEP_3)
	v_cmp_eq_u32_e32 vcc_lo, 0, v20
	v_dual_cndmask_b32 v15, v15, v17 :: v_dual_cndmask_b32 v14, v14, v16
	v_lshlrev_b32_e32 v16, 30, v92
	s_delay_alu instid0(VALU_DEP_2) | instskip(NEXT) | instid1(VALU_DEP_2)
	v_cndmask_b32_e64 v14, 0, v14, s0
	v_and_b32_e32 v16, 0x80000000, v16
	s_delay_alu instid0(VALU_DEP_1) | instskip(NEXT) | instid1(VALU_DEP_1)
	v_xor_b32_e32 v15, v15, v16
	v_cndmask_b32_e64 v15, 0x7ff80000, v15, s0
	s_delay_alu instid0(VALU_DEP_1) | instskip(NEXT) | instid1(VALU_DEP_1)
	v_mul_f64 v[14:15], v[31:32], v[14:15]
	v_fma_f64 v[14:15], v[53:54], v[22:23], v[14:15]
	s_delay_alu instid0(VALU_DEP_1) | instskip(NEXT) | instid1(VALU_DEP_1)
	v_div_scale_f64 v[16:17], null, v[18:19], v[18:19], -v[14:15]
	v_rcp_f64_e32 v[20:21], v[16:17]
	s_waitcnt_depctr 0xfff
	v_fma_f64 v[22:23], -v[16:17], v[20:21], 1.0
	s_delay_alu instid0(VALU_DEP_1) | instskip(NEXT) | instid1(VALU_DEP_1)
	v_fma_f64 v[20:21], v[20:21], v[22:23], v[20:21]
	v_fma_f64 v[22:23], -v[16:17], v[20:21], 1.0
	s_delay_alu instid0(VALU_DEP_1) | instskip(SKIP_1) | instid1(VALU_DEP_1)
	v_fma_f64 v[20:21], v[20:21], v[22:23], v[20:21]
	v_div_scale_f64 v[22:23], vcc_lo, -v[14:15], v[18:19], -v[14:15]
	v_mul_f64 v[31:32], v[22:23], v[20:21]
	s_delay_alu instid0(VALU_DEP_1) | instskip(NEXT) | instid1(VALU_DEP_1)
	v_fma_f64 v[16:17], -v[16:17], v[31:32], v[22:23]
	v_div_fmas_f64 v[16:17], v[16:17], v[20:21], v[31:32]
	v_mul_f64 v[20:21], v[33:34], v[33:34]
	v_cmp_eq_u32_e32 vcc_lo, 0, v26
	v_and_b32_e32 v26, 1, v86
	s_delay_alu instid0(VALU_DEP_4) | instskip(NEXT) | instid1(VALU_DEP_4)
	v_div_fixup_f64 v[14:15], v[16:17], v[18:19], -v[14:15]
	v_mul_f64 v[22:23], v[20:21], 0.5
	v_fma_f64 v[49:50], v[20:21], s[16:17], s[14:15]
	v_mul_f64 v[16:17], v[10:11], v[10:11]
	v_mul_f64 v[10:11], v[2:3], v[10:11]
	s_delay_alu instid0(VALU_DEP_4) | instskip(NEXT) | instid1(VALU_DEP_4)
	v_add_f64 v[31:32], -v[22:23], 1.0
	v_fma_f64 v[49:50], v[20:21], v[49:50], s[18:19]
	s_delay_alu instid0(VALU_DEP_3) | instskip(SKIP_1) | instid1(VALU_DEP_4)
	v_mul_f64 v[10:11], v[10:11], v[12:13]
	v_mul_f64 v[12:13], v[41:42], v[41:42]
	v_add_f64 v[47:48], -v[31:32], 1.0
	s_delay_alu instid0(VALU_DEP_4) | instskip(NEXT) | instid1(VALU_DEP_2)
	v_fma_f64 v[49:50], v[20:21], v[49:50], s[20:21]
	v_add_f64 v[22:23], v[47:48], -v[22:23]
	s_delay_alu instid0(VALU_DEP_2) | instskip(SKIP_1) | instid1(VALU_DEP_3)
	v_fma_f64 v[49:50], v[20:21], v[49:50], s[22:23]
	v_mul_f64 v[47:48], v[20:21], v[20:21]
	v_fma_f64 v[22:23], v[33:34], -v[35:36], v[22:23]
	s_delay_alu instid0(VALU_DEP_3) | instskip(NEXT) | instid1(VALU_DEP_1)
	v_fma_f64 v[49:50], v[20:21], v[49:50], s[60:61]
	v_fma_f64 v[22:23], v[47:48], v[49:50], v[22:23]
	v_mul_f64 v[47:48], v[33:34], -v[20:21]
	v_mul_f64 v[49:50], v[35:36], 0.5
	s_delay_alu instid0(VALU_DEP_3) | instskip(SKIP_1) | instid1(VALU_DEP_1)
	v_add_f64 v[22:23], v[31:32], v[22:23]
	v_fma_f64 v[31:32], v[20:21], s[28:29], s[26:27]
	v_fma_f64 v[31:32], v[20:21], v[31:32], s[30:31]
	s_delay_alu instid0(VALU_DEP_1) | instskip(NEXT) | instid1(VALU_DEP_1)
	v_fma_f64 v[31:32], v[20:21], v[31:32], s[34:35]
	v_fma_f64 v[31:32], v[20:21], v[31:32], s[36:37]
	s_delay_alu instid0(VALU_DEP_1) | instskip(NEXT) | instid1(VALU_DEP_1)
	v_fma_f64 v[31:32], v[47:48], v[31:32], v[49:50]
	v_fma_f64 v[20:21], v[20:21], v[31:32], -v[35:36]
	s_delay_alu instid0(VALU_DEP_1) | instskip(NEXT) | instid1(VALU_DEP_1)
	v_fma_f64 v[20:21], v[47:48], s[38:39], v[20:21]
	v_add_f64 v[20:21], v[33:34], -v[20:21]
	s_delay_alu instid0(VALU_DEP_1) | instskip(NEXT) | instid1(VALU_DEP_2)
	v_xor_b32_e32 v21, 0x80000000, v21
	v_cndmask_b32_e32 v20, v20, v22, vcc_lo
	s_delay_alu instid0(VALU_DEP_2) | instskip(NEXT) | instid1(VALU_DEP_2)
	v_dual_cndmask_b32 v21, v21, v23 :: v_dual_lshlrev_b32 v22, 30, v85
	v_cndmask_b32_e64 v20, 0, v20, s2
	s_delay_alu instid0(VALU_DEP_2) | instskip(SKIP_1) | instid1(VALU_DEP_2)
	v_and_b32_e32 v22, 0x80000000, v22
	v_cmp_eq_u32_e32 vcc_lo, 0, v26
	v_xor_b32_e32 v21, v21, v22
	s_delay_alu instid0(VALU_DEP_1) | instskip(SKIP_2) | instid1(VALU_DEP_1)
	v_cndmask_b32_e64 v21, 0x7ff80000, v21, s2
	s_mov_b32 s2, 0x88e368f1
	s_mov_b32 s3, 0x3ee4f8b5
	v_mul_f64 v[16:17], v[16:17], v[20:21]
	v_mul_f64 v[20:21], v[37:38], v[37:38]
	s_delay_alu instid0(VALU_DEP_1) | instskip(SKIP_1) | instid1(VALU_DEP_2)
	v_mul_f64 v[22:23], v[20:21], 0.5
	v_fma_f64 v[35:36], v[20:21], s[16:17], s[14:15]
	v_add_f64 v[31:32], -v[22:23], 1.0
	s_delay_alu instid0(VALU_DEP_2) | instskip(NEXT) | instid1(VALU_DEP_2)
	v_fma_f64 v[35:36], v[20:21], v[35:36], s[18:19]
	v_add_f64 v[33:34], -v[31:32], 1.0
	s_delay_alu instid0(VALU_DEP_2) | instskip(NEXT) | instid1(VALU_DEP_2)
	v_fma_f64 v[35:36], v[20:21], v[35:36], s[20:21]
	v_add_f64 v[22:23], v[33:34], -v[22:23]
	s_delay_alu instid0(VALU_DEP_2) | instskip(SKIP_1) | instid1(VALU_DEP_3)
	v_fma_f64 v[35:36], v[20:21], v[35:36], s[22:23]
	v_mul_f64 v[33:34], v[20:21], v[20:21]
	v_fma_f64 v[22:23], v[37:38], -v[39:40], v[22:23]
	s_delay_alu instid0(VALU_DEP_3) | instskip(NEXT) | instid1(VALU_DEP_1)
	v_fma_f64 v[35:36], v[20:21], v[35:36], s[60:61]
	v_fma_f64 v[22:23], v[33:34], v[35:36], v[22:23]
	v_mul_f64 v[33:34], v[37:38], -v[20:21]
	v_mul_f64 v[35:36], v[39:40], 0.5
	s_delay_alu instid0(VALU_DEP_3) | instskip(SKIP_1) | instid1(VALU_DEP_1)
	v_add_f64 v[22:23], v[31:32], v[22:23]
	v_fma_f64 v[31:32], v[20:21], s[28:29], s[26:27]
	v_fma_f64 v[31:32], v[20:21], v[31:32], s[30:31]
	s_delay_alu instid0(VALU_DEP_1) | instskip(NEXT) | instid1(VALU_DEP_1)
	v_fma_f64 v[31:32], v[20:21], v[31:32], s[34:35]
	v_fma_f64 v[31:32], v[20:21], v[31:32], s[36:37]
	s_delay_alu instid0(VALU_DEP_1) | instskip(NEXT) | instid1(VALU_DEP_1)
	v_fma_f64 v[31:32], v[33:34], v[31:32], v[35:36]
	v_fma_f64 v[20:21], v[20:21], v[31:32], -v[39:40]
	s_delay_alu instid0(VALU_DEP_1) | instskip(SKIP_1) | instid1(VALU_DEP_2)
	v_fma_f64 v[20:21], v[33:34], s[38:39], v[20:21]
	v_fma_f64 v[33:34], v[12:13], s[16:17], s[14:15]
	v_add_f64 v[20:21], v[37:38], -v[20:21]
	s_delay_alu instid0(VALU_DEP_2) | instskip(NEXT) | instid1(VALU_DEP_2)
	v_fma_f64 v[33:34], v[12:13], v[33:34], s[18:19]
	v_xor_b32_e32 v21, 0x80000000, v21
	s_delay_alu instid0(VALU_DEP_3) | instskip(SKIP_1) | instid1(VALU_DEP_4)
	v_cndmask_b32_e32 v20, v20, v22, vcc_lo
	v_lshlrev_b32_e32 v22, 30, v86
	v_fma_f64 v[33:34], v[12:13], v[33:34], s[20:21]
	s_delay_alu instid0(VALU_DEP_4) | instskip(NEXT) | instid1(VALU_DEP_4)
	v_cndmask_b32_e32 v21, v21, v23, vcc_lo
	v_cndmask_b32_e64 v20, 0, v20, s0
	s_delay_alu instid0(VALU_DEP_4) | instskip(NEXT) | instid1(VALU_DEP_1)
	v_and_b32_e32 v22, 0x80000000, v22
	v_xor_b32_e32 v21, v21, v22
	s_delay_alu instid0(VALU_DEP_1) | instskip(NEXT) | instid1(VALU_DEP_1)
	v_cndmask_b32_e64 v21, 0x7ff80000, v21, s0
	v_mul_f64 v[16:17], v[16:17], v[20:21]
	v_mul_f64 v[20:21], v[12:13], 0.5
	v_fma_f64 v[33:34], v[12:13], v[33:34], s[22:23]
	s_delay_alu instid0(VALU_DEP_2) | instskip(NEXT) | instid1(VALU_DEP_2)
	v_add_f64 v[22:23], -v[20:21], 1.0
	v_fma_f64 v[33:34], v[12:13], v[33:34], s[60:61]
	s_delay_alu instid0(VALU_DEP_2) | instskip(NEXT) | instid1(VALU_DEP_1)
	v_add_f64 v[31:32], -v[22:23], 1.0
	v_add_f64 v[20:21], v[31:32], -v[20:21]
	v_mul_f64 v[31:32], v[12:13], v[12:13]
	s_delay_alu instid0(VALU_DEP_2) | instskip(NEXT) | instid1(VALU_DEP_1)
	v_fma_f64 v[20:21], v[41:42], -v[43:44], v[20:21]
	v_fma_f64 v[20:21], v[31:32], v[33:34], v[20:21]
	v_mul_f64 v[31:32], v[41:42], -v[12:13]
	v_mul_f64 v[33:34], v[43:44], 0.5
	s_delay_alu instid0(VALU_DEP_3) | instskip(SKIP_1) | instid1(VALU_DEP_1)
	v_add_f64 v[20:21], v[22:23], v[20:21]
	v_fma_f64 v[22:23], v[12:13], s[28:29], s[26:27]
	v_fma_f64 v[22:23], v[12:13], v[22:23], s[30:31]
	s_delay_alu instid0(VALU_DEP_1) | instskip(NEXT) | instid1(VALU_DEP_1)
	v_fma_f64 v[22:23], v[12:13], v[22:23], s[34:35]
	v_fma_f64 v[22:23], v[12:13], v[22:23], s[36:37]
	s_delay_alu instid0(VALU_DEP_1) | instskip(NEXT) | instid1(VALU_DEP_1)
	v_fma_f64 v[22:23], v[31:32], v[22:23], v[33:34]
	v_fma_f64 v[12:13], v[12:13], v[22:23], -v[43:44]
	v_and_b32_e32 v22, 1, v87
	s_delay_alu instid0(VALU_DEP_1) | instskip(NEXT) | instid1(VALU_DEP_3)
	v_cmp_eq_u32_e32 vcc_lo, 0, v22
	v_fma_f64 v[12:13], v[31:32], s[38:39], v[12:13]
	s_delay_alu instid0(VALU_DEP_1) | instskip(NEXT) | instid1(VALU_DEP_1)
	v_add_f64 v[12:13], v[41:42], -v[12:13]
	v_cndmask_b32_e32 v12, v20, v12, vcc_lo
	s_delay_alu instid0(VALU_DEP_2) | instskip(NEXT) | instid1(VALU_DEP_2)
	v_dual_cndmask_b32 v13, v21, v13 :: v_dual_lshlrev_b32 v20, 30, v87
	v_cndmask_b32_e64 v12, 0, v12, s0
	s_delay_alu instid0(VALU_DEP_2) | instskip(NEXT) | instid1(VALU_DEP_1)
	v_xor_b32_e32 v20, v20, v5
	v_and_b32_e32 v20, 0x80000000, v20
	s_delay_alu instid0(VALU_DEP_1) | instskip(NEXT) | instid1(VALU_DEP_1)
	v_xor_b32_e32 v13, v13, v20
	v_cndmask_b32_e64 v13, 0x7ff80000, v13, s0
	s_delay_alu instid0(VALU_DEP_1) | instskip(NEXT) | instid1(VALU_DEP_1)
	v_fma_f64 v[10:11], v[10:11], v[12:13], -v[16:17]
	v_div_scale_f64 v[12:13], null, v[18:19], v[18:19], -v[10:11]
	s_delay_alu instid0(VALU_DEP_1) | instskip(SKIP_2) | instid1(VALU_DEP_1)
	v_rcp_f64_e32 v[16:17], v[12:13]
	s_waitcnt_depctr 0xfff
	v_fma_f64 v[20:21], -v[12:13], v[16:17], 1.0
	v_fma_f64 v[16:17], v[16:17], v[20:21], v[16:17]
	s_delay_alu instid0(VALU_DEP_1) | instskip(NEXT) | instid1(VALU_DEP_1)
	v_fma_f64 v[20:21], -v[12:13], v[16:17], 1.0
	v_fma_f64 v[16:17], v[16:17], v[20:21], v[16:17]
	v_div_scale_f64 v[20:21], vcc_lo, -v[10:11], v[18:19], -v[10:11]
	s_delay_alu instid0(VALU_DEP_1) | instskip(NEXT) | instid1(VALU_DEP_1)
	v_mul_f64 v[22:23], v[20:21], v[16:17]
	v_fma_f64 v[12:13], -v[12:13], v[22:23], v[20:21]
	s_delay_alu instid0(VALU_DEP_1) | instskip(NEXT) | instid1(VALU_DEP_1)
	v_div_fmas_f64 v[12:13], v[12:13], v[16:17], v[22:23]
	v_div_fixup_f64 v[16:17], v[12:13], v[18:19], -v[10:11]
	v_add_f64 v[12:13], -v[6:7], 1.0
	s_delay_alu instid0(VALU_DEP_1) | instskip(SKIP_3) | instid1(VALU_DEP_1)
	v_cmp_gt_f64_e32 vcc_lo, 0x10000000, v[12:13]
	v_cndmask_b32_e64 v10, 0, 1, vcc_lo
	s_and_b32 s1, vcc_lo, exec_lo
	s_cselect_b32 s1, 0xffffff80, 0
	v_lshlrev_b32_e32 v10, 8, v10
	s_delay_alu instid0(VALU_DEP_1) | instskip(NEXT) | instid1(VALU_DEP_1)
	v_ldexp_f64 v[10:11], v[12:13], v10
	v_rsq_f64_e32 v[20:21], v[10:11]
	v_cmp_class_f64_e64 vcc_lo, v[10:11], 0x260
	s_waitcnt_depctr 0xfff
	v_mul_f64 v[22:23], v[10:11], v[20:21]
	v_mul_f64 v[20:21], v[20:21], 0.5
	s_delay_alu instid0(VALU_DEP_1) | instskip(NEXT) | instid1(VALU_DEP_1)
	v_fma_f64 v[31:32], -v[20:21], v[22:23], 0.5
	v_fma_f64 v[22:23], v[22:23], v[31:32], v[22:23]
	v_fma_f64 v[20:21], v[20:21], v[31:32], v[20:21]
	s_delay_alu instid0(VALU_DEP_2) | instskip(NEXT) | instid1(VALU_DEP_1)
	v_fma_f64 v[33:34], -v[22:23], v[22:23], v[10:11]
	v_fma_f64 v[22:23], v[33:34], v[20:21], v[22:23]
	s_delay_alu instid0(VALU_DEP_1) | instskip(NEXT) | instid1(VALU_DEP_1)
	v_fma_f64 v[31:32], -v[22:23], v[22:23], v[10:11]
	v_fma_f64 v[20:21], v[31:32], v[20:21], v[22:23]
	v_frexp_exp_i32_f64_e32 v22, v[12:13]
	s_delay_alu instid0(VALU_DEP_2) | instskip(NEXT) | instid1(VALU_DEP_1)
	v_ldexp_f64 v[20:21], v[20:21], s1
	v_dual_cndmask_b32 v11, v21, v11 :: v_dual_cndmask_b32 v10, v20, v10
	v_cmp_eq_f64_e32 vcc_lo, 1.0, v[12:13]
	v_frexp_mant_f64_e64 v[20:21], |v[12:13]|
	s_delay_alu instid0(VALU_DEP_3) | instskip(SKIP_1) | instid1(VALU_DEP_2)
	v_add_f64 v[10:11], v[10:11], 1.0
	s_and_b32 s1, vcc_lo, exec_lo
	v_cmp_gt_f64_e32 vcc_lo, s[88:89], v[20:21]
	s_cselect_b32 s6, 0, 0x55555555
	s_delay_alu instid0(VALU_DEP_2) | instskip(SKIP_1) | instid1(SALU_CYCLE_1)
	v_add_f64 v[10:11], v[10:11], s[2:3]
	s_mov_b32 s3, 0x3ff00000
	s_cselect_b32 s7, s3, 0x3fd55555
	s_and_b32 s1, vcc_lo, exec_lo
	s_cselect_b32 s13, 2.0, 0x3ff00000
	v_subrev_co_ci_u32_e32 v26, vcc_lo, 0, v22, vcc_lo
	v_mul_f64 v[20:21], v[20:21], s[12:13]
	s_delay_alu instid0(VALU_DEP_1) | instskip(SKIP_1) | instid1(VALU_DEP_2)
	v_add_f64 v[31:32], v[20:21], 1.0
	v_add_f64 v[22:23], v[20:21], -1.0
	v_add_f64 v[33:34], v[31:32], -1.0
	s_delay_alu instid0(VALU_DEP_1) | instskip(SKIP_3) | instid1(VALU_DEP_1)
	v_add_f64 v[20:21], v[20:21], -v[33:34]
	v_rcp_f64_e32 v[33:34], v[31:32]
	s_waitcnt_depctr 0xfff
	v_fma_f64 v[35:36], -v[31:32], v[33:34], 1.0
	v_fma_f64 v[33:34], v[35:36], v[33:34], v[33:34]
	s_delay_alu instid0(VALU_DEP_1) | instskip(NEXT) | instid1(VALU_DEP_1)
	v_fma_f64 v[35:36], -v[31:32], v[33:34], 1.0
	v_fma_f64 v[33:34], v[35:36], v[33:34], v[33:34]
	s_delay_alu instid0(VALU_DEP_1) | instskip(NEXT) | instid1(VALU_DEP_1)
	v_mul_f64 v[35:36], v[22:23], v[33:34]
	v_mul_f64 v[37:38], v[31:32], v[35:36]
	s_delay_alu instid0(VALU_DEP_1) | instskip(NEXT) | instid1(VALU_DEP_1)
	v_fma_f64 v[31:32], v[35:36], v[31:32], -v[37:38]
	v_fma_f64 v[20:21], v[35:36], v[20:21], v[31:32]
	s_delay_alu instid0(VALU_DEP_1) | instskip(NEXT) | instid1(VALU_DEP_1)
	v_add_f64 v[31:32], v[37:38], v[20:21]
	v_add_f64 v[39:40], v[22:23], -v[31:32]
	v_add_f64 v[37:38], v[31:32], -v[37:38]
	s_delay_alu instid0(VALU_DEP_2) | instskip(NEXT) | instid1(VALU_DEP_2)
	v_add_f64 v[22:23], v[22:23], -v[39:40]
	v_add_f64 v[20:21], v[37:38], -v[20:21]
	v_cvt_f64_i32_e32 v[37:38], v26
	s_delay_alu instid0(VALU_DEP_3) | instskip(NEXT) | instid1(VALU_DEP_1)
	v_add_f64 v[22:23], v[22:23], -v[31:32]
	v_add_f64 v[20:21], v[20:21], v[22:23]
	s_delay_alu instid0(VALU_DEP_1) | instskip(NEXT) | instid1(VALU_DEP_4)
	v_add_f64 v[20:21], v[39:40], v[20:21]
	v_mul_f64 v[39:40], v[37:38], s[58:59]
	s_delay_alu instid0(VALU_DEP_2) | instskip(NEXT) | instid1(VALU_DEP_2)
	v_mul_f64 v[20:21], v[33:34], v[20:21]
	v_fma_f64 v[41:42], v[37:38], s[58:59], -v[39:40]
	s_delay_alu instid0(VALU_DEP_2) | instskip(NEXT) | instid1(VALU_DEP_2)
	v_add_f64 v[22:23], v[35:36], v[20:21]
	v_fma_f64 v[37:38], v[37:38], s[24:25], v[41:42]
	s_delay_alu instid0(VALU_DEP_2) | instskip(NEXT) | instid1(VALU_DEP_2)
	v_add_f64 v[31:32], v[22:23], -v[35:36]
	v_add_f64 v[41:42], v[39:40], v[37:38]
	s_delay_alu instid0(VALU_DEP_2) | instskip(SKIP_1) | instid1(VALU_DEP_3)
	v_add_f64 v[20:21], v[20:21], -v[31:32]
	v_mul_f64 v[31:32], v[22:23], v[22:23]
	v_add_f64 v[39:40], v[41:42], -v[39:40]
	s_delay_alu instid0(VALU_DEP_3) | instskip(NEXT) | instid1(VALU_DEP_3)
	v_add_f64 v[35:36], v[20:21], v[20:21]
	v_fma_f64 v[33:34], v[22:23], v[22:23], -v[31:32]
	v_ldexp_f64 v[43:44], v[20:21], 1
	s_delay_alu instid0(VALU_DEP_4) | instskip(SKIP_1) | instid1(VALU_DEP_4)
	v_add_f64 v[37:38], v[37:38], -v[39:40]
	v_ldexp_f64 v[39:40], v[22:23], 1
	v_fma_f64 v[33:34], v[22:23], v[35:36], v[33:34]
	s_delay_alu instid0(VALU_DEP_1) | instskip(NEXT) | instid1(VALU_DEP_1)
	v_add_f64 v[35:36], v[31:32], v[33:34]
	v_add_f64 v[31:32], v[35:36], -v[31:32]
	v_mul_f64 v[47:48], v[22:23], v[35:36]
	s_delay_alu instid0(VALU_DEP_2) | instskip(SKIP_1) | instid1(VALU_DEP_3)
	v_add_f64 v[31:32], v[33:34], -v[31:32]
	v_fma_f64 v[33:34], v[35:36], s[42:43], s[62:63]
	v_fma_f64 v[49:50], v[35:36], v[22:23], -v[47:48]
	s_delay_alu instid0(VALU_DEP_2) | instskip(NEXT) | instid1(VALU_DEP_2)
	v_fma_f64 v[33:34], v[35:36], v[33:34], s[44:45]
	v_fma_f64 v[20:21], v[35:36], v[20:21], v[49:50]
	s_delay_alu instid0(VALU_DEP_2) | instskip(NEXT) | instid1(VALU_DEP_2)
	v_fma_f64 v[33:34], v[35:36], v[33:34], s[46:47]
	v_fma_f64 v[20:21], v[31:32], v[22:23], v[20:21]
	s_delay_alu instid0(VALU_DEP_2) | instskip(NEXT) | instid1(VALU_DEP_2)
	v_fma_f64 v[33:34], v[35:36], v[33:34], s[48:49]
	v_add_f64 v[22:23], v[47:48], v[20:21]
	s_delay_alu instid0(VALU_DEP_2) | instskip(NEXT) | instid1(VALU_DEP_2)
	v_fma_f64 v[33:34], v[35:36], v[33:34], s[50:51]
	v_add_f64 v[47:48], v[22:23], -v[47:48]
	s_delay_alu instid0(VALU_DEP_2) | instskip(NEXT) | instid1(VALU_DEP_2)
	v_fma_f64 v[33:34], v[35:36], v[33:34], s[52:53]
	v_add_f64 v[20:21], v[20:21], -v[47:48]
	s_delay_alu instid0(VALU_DEP_2) | instskip(NEXT) | instid1(VALU_DEP_1)
	v_fma_f64 v[33:34], v[35:36], v[33:34], s[54:55]
	v_fma_f64 v[33:34], v[35:36], v[33:34], s[56:57]
	s_delay_alu instid0(VALU_DEP_1) | instskip(NEXT) | instid1(VALU_DEP_1)
	v_mul_f64 v[47:48], v[35:36], v[33:34]
	v_fma_f64 v[35:36], v[35:36], v[33:34], -v[47:48]
	s_delay_alu instid0(VALU_DEP_1) | instskip(NEXT) | instid1(VALU_DEP_1)
	v_fma_f64 v[31:32], v[31:32], v[33:34], v[35:36]
	v_add_f64 v[33:34], v[47:48], v[31:32]
	s_delay_alu instid0(VALU_DEP_1) | instskip(NEXT) | instid1(VALU_DEP_1)
	v_add_f64 v[35:36], v[33:34], -v[47:48]
	v_add_f64 v[31:32], v[31:32], -v[35:36]
	v_add_f64 v[35:36], v[33:34], s[88:89]
	s_delay_alu instid0(VALU_DEP_2) | instskip(NEXT) | instid1(VALU_DEP_2)
	v_add_f64 v[31:32], v[31:32], s[66:67]
	v_add_f64 v[47:48], v[35:36], s[64:65]
	s_delay_alu instid0(VALU_DEP_1) | instskip(NEXT) | instid1(VALU_DEP_1)
	v_add_f64 v[33:34], v[33:34], -v[47:48]
	v_add_f64 v[31:32], v[31:32], v[33:34]
	s_delay_alu instid0(VALU_DEP_1) | instskip(NEXT) | instid1(VALU_DEP_1)
	v_add_f64 v[33:34], v[35:36], v[31:32]
	v_add_f64 v[35:36], v[35:36], -v[33:34]
	s_delay_alu instid0(VALU_DEP_1) | instskip(SKIP_1) | instid1(VALU_DEP_1)
	v_add_f64 v[31:32], v[31:32], v[35:36]
	v_mul_f64 v[35:36], v[22:23], v[33:34]
	v_fma_f64 v[47:48], v[22:23], v[33:34], -v[35:36]
	s_delay_alu instid0(VALU_DEP_1) | instskip(NEXT) | instid1(VALU_DEP_1)
	v_fma_f64 v[22:23], v[22:23], v[31:32], v[47:48]
	v_fma_f64 v[20:21], v[20:21], v[33:34], v[22:23]
	s_delay_alu instid0(VALU_DEP_1) | instskip(NEXT) | instid1(VALU_DEP_1)
	v_add_f64 v[22:23], v[35:36], v[20:21]
	v_add_f64 v[31:32], v[22:23], -v[35:36]
	s_delay_alu instid0(VALU_DEP_1) | instskip(SKIP_1) | instid1(VALU_DEP_2)
	v_add_f64 v[20:21], v[20:21], -v[31:32]
	v_add_f64 v[31:32], v[39:40], v[22:23]
	v_add_f64 v[20:21], v[43:44], v[20:21]
	s_delay_alu instid0(VALU_DEP_2) | instskip(NEXT) | instid1(VALU_DEP_1)
	v_add_f64 v[33:34], v[31:32], -v[39:40]
	v_add_f64 v[22:23], v[22:23], -v[33:34]
	s_delay_alu instid0(VALU_DEP_1) | instskip(NEXT) | instid1(VALU_DEP_1)
	v_add_f64 v[20:21], v[20:21], v[22:23]
	v_add_f64 v[22:23], v[31:32], v[20:21]
	s_delay_alu instid0(VALU_DEP_1) | instskip(NEXT) | instid1(VALU_DEP_1)
	v_add_f64 v[31:32], v[22:23], -v[31:32]
	v_add_f64 v[20:21], v[20:21], -v[31:32]
	v_add_f64 v[31:32], v[41:42], v[22:23]
	s_delay_alu instid0(VALU_DEP_1) | instskip(NEXT) | instid1(VALU_DEP_1)
	v_add_f64 v[33:34], v[31:32], -v[41:42]
	v_add_f64 v[35:36], v[31:32], -v[33:34]
	;; [unrolled: 1-line block ×3, first 2 shown]
	v_add_f64 v[33:34], v[37:38], v[20:21]
	s_delay_alu instid0(VALU_DEP_3) | instskip(NEXT) | instid1(VALU_DEP_1)
	v_add_f64 v[35:36], v[41:42], -v[35:36]
	v_add_f64 v[22:23], v[22:23], v[35:36]
	s_delay_alu instid0(VALU_DEP_3) | instskip(NEXT) | instid1(VALU_DEP_2)
	v_add_f64 v[35:36], v[33:34], -v[37:38]
	v_add_f64 v[22:23], v[33:34], v[22:23]
	s_delay_alu instid0(VALU_DEP_2) | instskip(SKIP_1) | instid1(VALU_DEP_3)
	v_add_f64 v[39:40], v[33:34], -v[35:36]
	v_add_f64 v[20:21], v[20:21], -v[35:36]
	v_add_f64 v[33:34], v[31:32], v[22:23]
	s_delay_alu instid0(VALU_DEP_3) | instskip(NEXT) | instid1(VALU_DEP_2)
	v_add_f64 v[37:38], v[37:38], -v[39:40]
	v_add_f64 v[31:32], v[33:34], -v[31:32]
	s_delay_alu instid0(VALU_DEP_2) | instskip(NEXT) | instid1(VALU_DEP_2)
	v_add_f64 v[20:21], v[20:21], v[37:38]
	v_add_f64 v[22:23], v[22:23], -v[31:32]
	s_delay_alu instid0(VALU_DEP_1) | instskip(NEXT) | instid1(VALU_DEP_1)
	v_add_f64 v[20:21], v[20:21], v[22:23]
	v_add_f64 v[22:23], v[33:34], v[20:21]
	s_delay_alu instid0(VALU_DEP_1) | instskip(NEXT) | instid1(VALU_DEP_1)
	v_add_f64 v[31:32], v[22:23], -v[33:34]
	v_add_f64 v[20:21], v[20:21], -v[31:32]
	v_mul_f64 v[31:32], s[6:7], v[22:23]
	s_delay_alu instid0(VALU_DEP_1) | instskip(SKIP_1) | instid1(VALU_DEP_2)
	v_fma_f64 v[22:23], s[6:7], v[22:23], -v[31:32]
	v_cmp_class_f64_e64 vcc_lo, v[31:32], 0x204
	v_fma_f64 v[20:21], s[6:7], v[20:21], v[22:23]
	s_delay_alu instid0(VALU_DEP_1) | instskip(NEXT) | instid1(VALU_DEP_1)
	v_add_f64 v[22:23], v[31:32], v[20:21]
	v_add_f64 v[33:34], v[22:23], -v[31:32]
	v_dual_cndmask_b32 v23, v23, v32 :: v_dual_cndmask_b32 v22, v22, v31
	s_delay_alu instid0(VALU_DEP_1) | instskip(SKIP_1) | instid1(VALU_DEP_4)
	v_mul_f64 v[31:32], v[22:23], s[68:69]
	v_cmp_neq_f64_e64 vcc_lo, 0x7ff00000, |v[22:23]|
	v_add_f64 v[20:21], v[20:21], -v[33:34]
	s_delay_alu instid0(VALU_DEP_3) | instskip(NEXT) | instid1(VALU_DEP_2)
	v_rndne_f64_e32 v[31:32], v[31:32]
	v_dual_cndmask_b32 v21, 0, v21 :: v_dual_cndmask_b32 v20, 0, v20
	v_cmp_lt_f64_e32 vcc_lo, 0x40900000, v[22:23]
	s_delay_alu instid0(VALU_DEP_3) | instskip(SKIP_3) | instid1(VALU_DEP_3)
	v_fma_f64 v[33:34], v[31:32], s[94:95], v[22:23]
	v_cvt_i32_f64_e32 v26, v[31:32]
	s_and_b32 s1, vcc_lo, exec_lo
	v_cmp_ngt_f64_e64 s1, 0xc090cc00, v[22:23]
	v_fma_f64 v[33:34], v[31:32], s[86:87], v[33:34]
	s_delay_alu instid0(VALU_DEP_1) | instskip(NEXT) | instid1(VALU_DEP_1)
	v_fma_f64 v[35:36], v[33:34], s[74:75], s[72:73]
	v_fma_f64 v[35:36], v[33:34], v[35:36], s[76:77]
	s_delay_alu instid0(VALU_DEP_1) | instskip(NEXT) | instid1(VALU_DEP_1)
	v_fma_f64 v[35:36], v[33:34], v[35:36], s[78:79]
	;; [unrolled: 3-line block ×5, first 2 shown]
	v_fma_f64 v[35:36], v[33:34], v[35:36], 1.0
	s_delay_alu instid0(VALU_DEP_1) | instskip(NEXT) | instid1(VALU_DEP_1)
	v_fma_f64 v[33:34], v[33:34], v[35:36], 1.0
	v_ldexp_f64 v[31:32], v[33:34], v26
	s_delay_alu instid0(VALU_DEP_1) | instskip(NEXT) | instid1(VALU_DEP_2)
	v_readfirstlane_b32 s2, v31
	v_cndmask_b32_e64 v26, v32, 0x7ff00000, vcc_lo
	v_and_b32_e32 v32, 0x7fffffff, v32
	s_delay_alu instid0(VALU_DEP_3)
	s_cselect_b32 s10, 0, s2
	v_mov_b32_e32 v31, s2
	s_and_b32 s11, s1, exec_lo
	s_cselect_b32 s10, s10, 0
	v_cndmask_b32_e64 v23, 0, v26, s1
	v_mov_b32_e32 v22, s10
	v_cmp_eq_f64_e64 s2, 0x7ff00000, v[31:32]
	s_delay_alu instid0(VALU_DEP_2) | instskip(NEXT) | instid1(VALU_DEP_2)
	v_fma_f64 v[20:21], v[22:23], v[20:21], v[22:23]
	s_or_b32 s2, vcc_lo, s2
	s_delay_alu instid0(SALU_CYCLE_1) | instskip(NEXT) | instid1(VALU_DEP_1)
	s_and_b32 vcc_lo, s1, s2
	v_readfirstlane_b32 s1, v20
	s_delay_alu instid0(VALU_DEP_2) | instskip(SKIP_4) | instid1(VALU_DEP_2)
	v_cndmask_b32_e32 v26, v21, v23, vcc_lo
	v_trunc_f64_e32 v[20:21], s[6:7]
	s_and_b32 s2, vcc_lo, exec_lo
	v_cmp_gt_f64_e64 s2, 0, v[12:13]
	s_cselect_b32 s10, s10, s1
	v_cmp_eq_f64_e32 vcc_lo, s[6:7], v[20:21]
	v_mul_f64 v[20:21], s[6:7], 0.5
	s_delay_alu instid0(VALU_DEP_1) | instskip(NEXT) | instid1(VALU_DEP_1)
	v_trunc_f64_e32 v[22:23], v[20:21]
	v_cmp_neq_f64_e64 s1, v[22:23], v[20:21]
	s_delay_alu instid0(VALU_DEP_1)
	s_and_b32 s1, vcc_lo, s1
	s_and_b32 s6, vcc_lo, exec_lo
	v_cndmask_b32_e64 v20, 0x3ff00000, v13, s1
	s_cselect_b32 s6, s10, 0
	s_and_b32 s7, s2, exec_lo
	s_cselect_b32 s6, s6, s10
	s_delay_alu instid0(VALU_DEP_1) | instskip(NEXT) | instid1(VALU_DEP_1)
	v_bfi_b32 v20, 0x7fffffff, v26, v20
	v_cndmask_b32_e32 v21, 0x7ff80000, v20, vcc_lo
	v_cmp_eq_f64_e32 vcc_lo, 0, v[12:13]
	s_delay_alu instid0(VALU_DEP_2) | instskip(SKIP_2) | instid1(VALU_DEP_2)
	v_cndmask_b32_e64 v20, v20, v21, s2
	v_cmp_class_f64_e64 s2, v[12:13], 0x204
	v_cndmask_b32_e64 v21, 0, v13, s1
	s_or_b32 s2, vcc_lo, s2
	s_and_b32 s7, vcc_lo, exec_lo
	v_cmp_o_f64_e32 vcc_lo, v[12:13], v[12:13]
	s_cselect_b32 s7, 0, 0x7ff00000
	s_and_b32 s1, s2, exec_lo
	v_bfi_b32 v21, 0x7fffffff, s7, v21
	s_cselect_b32 s1, 0, s6
	s_delay_alu instid0(VALU_DEP_1) | instskip(NEXT) | instid1(VALU_DEP_1)
	v_cndmask_b32_e64 v20, v20, v21, s2
	v_cndmask_b32_e32 v13, 0x7ff80000, v20, vcc_lo
	v_add_f64 v[20:21], s[8:9], 1.0
	s_and_b32 s2, vcc_lo, exec_lo
	s_cselect_b32 s1, s1, 0
	s_delay_alu instid0(SALU_CYCLE_1) | instskip(NEXT) | instid1(VALU_DEP_2)
	v_mov_b32_e32 v12, s1
	v_cmp_eq_f64_e32 vcc_lo, 1.0, v[20:21]
	v_frexp_mant_f64_e64 v[22:23], |v[20:21]|
	v_frexp_exp_i32_f64_e32 v26, v[20:21]
	s_and_b32 s1, vcc_lo, exec_lo
	s_delay_alu instid0(VALU_DEP_2) | instskip(SKIP_4) | instid1(VALU_DEP_2)
	v_cmp_gt_f64_e32 vcc_lo, s[88:89], v[22:23]
	s_cselect_b32 s7, s3, 0x3fd55555
	s_cselect_b32 s6, 0, 0x55555555
	s_and_b32 s1, vcc_lo, exec_lo
	s_cselect_b32 s13, 2.0, 0x3ff00000
	v_subrev_co_ci_u32_e32 v26, vcc_lo, 0, v26, vcc_lo
	v_mul_f64 v[22:23], v[22:23], s[12:13]
	s_delay_alu instid0(VALU_DEP_1) | instskip(SKIP_1) | instid1(VALU_DEP_2)
	v_add_f64 v[33:34], v[22:23], 1.0
	v_add_f64 v[31:32], v[22:23], -1.0
	v_add_f64 v[35:36], v[33:34], -1.0
	s_delay_alu instid0(VALU_DEP_1) | instskip(SKIP_3) | instid1(VALU_DEP_1)
	v_add_f64 v[22:23], v[22:23], -v[35:36]
	v_rcp_f64_e32 v[35:36], v[33:34]
	s_waitcnt_depctr 0xfff
	v_fma_f64 v[37:38], -v[33:34], v[35:36], 1.0
	v_fma_f64 v[35:36], v[37:38], v[35:36], v[35:36]
	s_delay_alu instid0(VALU_DEP_1) | instskip(NEXT) | instid1(VALU_DEP_1)
	v_fma_f64 v[37:38], -v[33:34], v[35:36], 1.0
	v_fma_f64 v[35:36], v[37:38], v[35:36], v[35:36]
	s_delay_alu instid0(VALU_DEP_1) | instskip(NEXT) | instid1(VALU_DEP_1)
	v_mul_f64 v[37:38], v[31:32], v[35:36]
	v_mul_f64 v[39:40], v[33:34], v[37:38]
	s_delay_alu instid0(VALU_DEP_1) | instskip(NEXT) | instid1(VALU_DEP_1)
	v_fma_f64 v[33:34], v[37:38], v[33:34], -v[39:40]
	v_fma_f64 v[22:23], v[37:38], v[22:23], v[33:34]
	s_delay_alu instid0(VALU_DEP_1) | instskip(NEXT) | instid1(VALU_DEP_1)
	v_add_f64 v[33:34], v[39:40], v[22:23]
	v_add_f64 v[41:42], v[31:32], -v[33:34]
	v_add_f64 v[39:40], v[33:34], -v[39:40]
	s_delay_alu instid0(VALU_DEP_2) | instskip(NEXT) | instid1(VALU_DEP_2)
	v_add_f64 v[31:32], v[31:32], -v[41:42]
	v_add_f64 v[22:23], v[39:40], -v[22:23]
	v_cvt_f64_i32_e32 v[39:40], v26
	s_delay_alu instid0(VALU_DEP_3) | instskip(NEXT) | instid1(VALU_DEP_1)
	v_add_f64 v[31:32], v[31:32], -v[33:34]
	v_add_f64 v[22:23], v[22:23], v[31:32]
	s_delay_alu instid0(VALU_DEP_1) | instskip(NEXT) | instid1(VALU_DEP_4)
	v_add_f64 v[22:23], v[41:42], v[22:23]
	v_mul_f64 v[41:42], v[39:40], s[58:59]
	s_delay_alu instid0(VALU_DEP_2) | instskip(NEXT) | instid1(VALU_DEP_2)
	v_mul_f64 v[22:23], v[35:36], v[22:23]
	v_fma_f64 v[43:44], v[39:40], s[58:59], -v[41:42]
	s_delay_alu instid0(VALU_DEP_2) | instskip(NEXT) | instid1(VALU_DEP_2)
	v_add_f64 v[31:32], v[37:38], v[22:23]
	v_fma_f64 v[39:40], v[39:40], s[24:25], v[43:44]
	s_delay_alu instid0(VALU_DEP_2) | instskip(NEXT) | instid1(VALU_DEP_2)
	v_add_f64 v[33:34], v[31:32], -v[37:38]
	v_add_f64 v[43:44], v[41:42], v[39:40]
	s_delay_alu instid0(VALU_DEP_2) | instskip(SKIP_1) | instid1(VALU_DEP_3)
	v_add_f64 v[22:23], v[22:23], -v[33:34]
	v_mul_f64 v[33:34], v[31:32], v[31:32]
	v_add_f64 v[41:42], v[43:44], -v[41:42]
	s_delay_alu instid0(VALU_DEP_3) | instskip(NEXT) | instid1(VALU_DEP_3)
	v_add_f64 v[37:38], v[22:23], v[22:23]
	v_fma_f64 v[35:36], v[31:32], v[31:32], -v[33:34]
	v_ldexp_f64 v[47:48], v[22:23], 1
	s_delay_alu instid0(VALU_DEP_4) | instskip(SKIP_1) | instid1(VALU_DEP_4)
	v_add_f64 v[39:40], v[39:40], -v[41:42]
	v_ldexp_f64 v[41:42], v[31:32], 1
	v_fma_f64 v[35:36], v[31:32], v[37:38], v[35:36]
	s_delay_alu instid0(VALU_DEP_1) | instskip(NEXT) | instid1(VALU_DEP_1)
	v_add_f64 v[37:38], v[33:34], v[35:36]
	v_add_f64 v[33:34], v[37:38], -v[33:34]
	v_mul_f64 v[49:50], v[31:32], v[37:38]
	s_delay_alu instid0(VALU_DEP_2) | instskip(SKIP_1) | instid1(VALU_DEP_3)
	v_add_f64 v[33:34], v[35:36], -v[33:34]
	v_fma_f64 v[35:36], v[37:38], s[42:43], s[62:63]
	v_fma_f64 v[53:54], v[37:38], v[31:32], -v[49:50]
	s_delay_alu instid0(VALU_DEP_2) | instskip(NEXT) | instid1(VALU_DEP_2)
	v_fma_f64 v[35:36], v[37:38], v[35:36], s[44:45]
	v_fma_f64 v[22:23], v[37:38], v[22:23], v[53:54]
	s_delay_alu instid0(VALU_DEP_2) | instskip(NEXT) | instid1(VALU_DEP_2)
	v_fma_f64 v[35:36], v[37:38], v[35:36], s[46:47]
	v_fma_f64 v[22:23], v[33:34], v[31:32], v[22:23]
	s_delay_alu instid0(VALU_DEP_2) | instskip(NEXT) | instid1(VALU_DEP_2)
	v_fma_f64 v[35:36], v[37:38], v[35:36], s[48:49]
	v_add_f64 v[31:32], v[49:50], v[22:23]
	s_delay_alu instid0(VALU_DEP_2) | instskip(NEXT) | instid1(VALU_DEP_2)
	v_fma_f64 v[35:36], v[37:38], v[35:36], s[50:51]
	v_add_f64 v[49:50], v[31:32], -v[49:50]
	s_delay_alu instid0(VALU_DEP_2) | instskip(NEXT) | instid1(VALU_DEP_2)
	v_fma_f64 v[35:36], v[37:38], v[35:36], s[52:53]
	v_add_f64 v[22:23], v[22:23], -v[49:50]
	s_delay_alu instid0(VALU_DEP_2) | instskip(NEXT) | instid1(VALU_DEP_1)
	v_fma_f64 v[35:36], v[37:38], v[35:36], s[54:55]
	v_fma_f64 v[35:36], v[37:38], v[35:36], s[56:57]
	s_delay_alu instid0(VALU_DEP_1) | instskip(NEXT) | instid1(VALU_DEP_1)
	v_mul_f64 v[49:50], v[37:38], v[35:36]
	v_fma_f64 v[37:38], v[37:38], v[35:36], -v[49:50]
	s_delay_alu instid0(VALU_DEP_1) | instskip(NEXT) | instid1(VALU_DEP_1)
	v_fma_f64 v[33:34], v[33:34], v[35:36], v[37:38]
	v_add_f64 v[35:36], v[49:50], v[33:34]
	s_delay_alu instid0(VALU_DEP_1) | instskip(NEXT) | instid1(VALU_DEP_1)
	v_add_f64 v[37:38], v[35:36], -v[49:50]
	v_add_f64 v[33:34], v[33:34], -v[37:38]
	v_add_f64 v[37:38], v[35:36], s[88:89]
	s_delay_alu instid0(VALU_DEP_2) | instskip(NEXT) | instid1(VALU_DEP_2)
	v_add_f64 v[33:34], v[33:34], s[66:67]
	v_add_f64 v[49:50], v[37:38], s[64:65]
	s_delay_alu instid0(VALU_DEP_1) | instskip(NEXT) | instid1(VALU_DEP_1)
	v_add_f64 v[35:36], v[35:36], -v[49:50]
	v_add_f64 v[33:34], v[33:34], v[35:36]
	s_delay_alu instid0(VALU_DEP_1) | instskip(NEXT) | instid1(VALU_DEP_1)
	v_add_f64 v[35:36], v[37:38], v[33:34]
	v_add_f64 v[37:38], v[37:38], -v[35:36]
	s_delay_alu instid0(VALU_DEP_1) | instskip(SKIP_1) | instid1(VALU_DEP_1)
	v_add_f64 v[33:34], v[33:34], v[37:38]
	v_mul_f64 v[37:38], v[31:32], v[35:36]
	v_fma_f64 v[49:50], v[31:32], v[35:36], -v[37:38]
	s_delay_alu instid0(VALU_DEP_1) | instskip(NEXT) | instid1(VALU_DEP_1)
	v_fma_f64 v[31:32], v[31:32], v[33:34], v[49:50]
	v_fma_f64 v[22:23], v[22:23], v[35:36], v[31:32]
	s_delay_alu instid0(VALU_DEP_1) | instskip(NEXT) | instid1(VALU_DEP_1)
	v_add_f64 v[31:32], v[37:38], v[22:23]
	v_add_f64 v[33:34], v[31:32], -v[37:38]
	s_delay_alu instid0(VALU_DEP_1) | instskip(SKIP_1) | instid1(VALU_DEP_2)
	v_add_f64 v[22:23], v[22:23], -v[33:34]
	v_add_f64 v[33:34], v[41:42], v[31:32]
	v_add_f64 v[22:23], v[47:48], v[22:23]
	s_delay_alu instid0(VALU_DEP_2) | instskip(NEXT) | instid1(VALU_DEP_1)
	v_add_f64 v[35:36], v[33:34], -v[41:42]
	v_add_f64 v[31:32], v[31:32], -v[35:36]
	s_delay_alu instid0(VALU_DEP_1) | instskip(NEXT) | instid1(VALU_DEP_1)
	v_add_f64 v[22:23], v[22:23], v[31:32]
	v_add_f64 v[31:32], v[33:34], v[22:23]
	s_delay_alu instid0(VALU_DEP_1) | instskip(NEXT) | instid1(VALU_DEP_1)
	v_add_f64 v[33:34], v[31:32], -v[33:34]
	v_add_f64 v[22:23], v[22:23], -v[33:34]
	v_add_f64 v[33:34], v[43:44], v[31:32]
	s_delay_alu instid0(VALU_DEP_1) | instskip(NEXT) | instid1(VALU_DEP_1)
	v_add_f64 v[35:36], v[33:34], -v[43:44]
	v_add_f64 v[37:38], v[33:34], -v[35:36]
	;; [unrolled: 1-line block ×3, first 2 shown]
	v_add_f64 v[35:36], v[39:40], v[22:23]
	s_delay_alu instid0(VALU_DEP_3) | instskip(NEXT) | instid1(VALU_DEP_1)
	v_add_f64 v[37:38], v[43:44], -v[37:38]
	v_add_f64 v[31:32], v[31:32], v[37:38]
	s_delay_alu instid0(VALU_DEP_3) | instskip(NEXT) | instid1(VALU_DEP_2)
	v_add_f64 v[37:38], v[35:36], -v[39:40]
	v_add_f64 v[31:32], v[35:36], v[31:32]
	s_delay_alu instid0(VALU_DEP_2) | instskip(SKIP_1) | instid1(VALU_DEP_3)
	v_add_f64 v[41:42], v[35:36], -v[37:38]
	v_add_f64 v[22:23], v[22:23], -v[37:38]
	v_add_f64 v[35:36], v[33:34], v[31:32]
	s_delay_alu instid0(VALU_DEP_3) | instskip(NEXT) | instid1(VALU_DEP_2)
	v_add_f64 v[39:40], v[39:40], -v[41:42]
	v_add_f64 v[33:34], v[35:36], -v[33:34]
	s_delay_alu instid0(VALU_DEP_2) | instskip(NEXT) | instid1(VALU_DEP_2)
	v_add_f64 v[22:23], v[22:23], v[39:40]
	v_add_f64 v[31:32], v[31:32], -v[33:34]
	s_delay_alu instid0(VALU_DEP_1) | instskip(NEXT) | instid1(VALU_DEP_1)
	v_add_f64 v[22:23], v[22:23], v[31:32]
	v_add_f64 v[31:32], v[35:36], v[22:23]
	s_delay_alu instid0(VALU_DEP_1) | instskip(NEXT) | instid1(VALU_DEP_1)
	v_add_f64 v[33:34], v[31:32], -v[35:36]
	v_add_f64 v[22:23], v[22:23], -v[33:34]
	v_mul_f64 v[33:34], s[6:7], v[31:32]
	s_delay_alu instid0(VALU_DEP_1) | instskip(SKIP_1) | instid1(VALU_DEP_2)
	v_fma_f64 v[31:32], s[6:7], v[31:32], -v[33:34]
	v_cmp_class_f64_e64 vcc_lo, v[33:34], 0x204
	v_fma_f64 v[22:23], s[6:7], v[22:23], v[31:32]
	s_delay_alu instid0(VALU_DEP_1) | instskip(NEXT) | instid1(VALU_DEP_1)
	v_add_f64 v[31:32], v[33:34], v[22:23]
	v_add_f64 v[35:36], v[31:32], -v[33:34]
	v_dual_cndmask_b32 v32, v32, v34 :: v_dual_cndmask_b32 v31, v31, v33
	s_delay_alu instid0(VALU_DEP_1) | instskip(SKIP_1) | instid1(VALU_DEP_4)
	v_mul_f64 v[33:34], v[31:32], s[68:69]
	v_cmp_neq_f64_e64 vcc_lo, 0x7ff00000, |v[31:32]|
	v_add_f64 v[22:23], v[22:23], -v[35:36]
	s_delay_alu instid0(VALU_DEP_3) | instskip(NEXT) | instid1(VALU_DEP_2)
	v_rndne_f64_e32 v[33:34], v[33:34]
	v_dual_cndmask_b32 v23, 0, v23 :: v_dual_cndmask_b32 v22, 0, v22
	v_cmp_lt_f64_e32 vcc_lo, 0x40900000, v[31:32]
	s_delay_alu instid0(VALU_DEP_3) | instskip(SKIP_3) | instid1(VALU_DEP_3)
	v_fma_f64 v[35:36], v[33:34], s[94:95], v[31:32]
	v_cvt_i32_f64_e32 v26, v[33:34]
	s_and_b32 s1, vcc_lo, exec_lo
	v_cmp_ngt_f64_e64 s1, 0xc090cc00, v[31:32]
	v_fma_f64 v[35:36], v[33:34], s[86:87], v[35:36]
	s_delay_alu instid0(VALU_DEP_1) | instskip(NEXT) | instid1(VALU_DEP_1)
	v_fma_f64 v[37:38], v[35:36], s[74:75], s[72:73]
	v_fma_f64 v[37:38], v[35:36], v[37:38], s[76:77]
	s_delay_alu instid0(VALU_DEP_1) | instskip(NEXT) | instid1(VALU_DEP_1)
	v_fma_f64 v[37:38], v[35:36], v[37:38], s[78:79]
	v_fma_f64 v[37:38], v[35:36], v[37:38], s[80:81]
	s_delay_alu instid0(VALU_DEP_1) | instskip(NEXT) | instid1(VALU_DEP_1)
	v_fma_f64 v[37:38], v[35:36], v[37:38], s[82:83]
	v_fma_f64 v[37:38], v[35:36], v[37:38], s[84:85]
	s_delay_alu instid0(VALU_DEP_1) | instskip(NEXT) | instid1(VALU_DEP_1)
	v_fma_f64 v[37:38], v[35:36], v[37:38], s[4:5]
	v_fma_f64 v[37:38], v[35:36], v[37:38], s[90:91]
	s_delay_alu instid0(VALU_DEP_1) | instskip(NEXT) | instid1(VALU_DEP_1)
	v_fma_f64 v[37:38], v[35:36], v[37:38], s[92:93]
	v_fma_f64 v[37:38], v[35:36], v[37:38], 1.0
	s_delay_alu instid0(VALU_DEP_1) | instskip(NEXT) | instid1(VALU_DEP_1)
	v_fma_f64 v[35:36], v[35:36], v[37:38], 1.0
	v_ldexp_f64 v[33:34], v[35:36], v26
	s_delay_alu instid0(VALU_DEP_1) | instskip(NEXT) | instid1(VALU_DEP_2)
	v_readfirstlane_b32 s2, v33
	v_cndmask_b32_e64 v26, v34, 0x7ff00000, vcc_lo
	v_and_b32_e32 v34, 0x7fffffff, v34
	s_delay_alu instid0(VALU_DEP_3)
	s_cselect_b32 s10, 0, s2
	v_mov_b32_e32 v33, s2
	s_and_b32 s11, s1, exec_lo
	s_cselect_b32 s10, s10, 0
	v_cndmask_b32_e64 v32, 0, v26, s1
	v_mov_b32_e32 v31, s10
	v_cmp_eq_f64_e64 s2, 0x7ff00000, v[33:34]
	s_delay_alu instid0(VALU_DEP_2) | instskip(NEXT) | instid1(VALU_DEP_2)
	v_fma_f64 v[22:23], v[31:32], v[22:23], v[31:32]
	s_or_b32 s2, vcc_lo, s2
	s_delay_alu instid0(SALU_CYCLE_1) | instskip(NEXT) | instid1(VALU_DEP_1)
	s_and_b32 vcc_lo, s1, s2
	v_readfirstlane_b32 s1, v22
	s_delay_alu instid0(VALU_DEP_2) | instskip(SKIP_4) | instid1(VALU_DEP_2)
	v_cndmask_b32_e32 v26, v23, v32, vcc_lo
	v_trunc_f64_e32 v[22:23], s[6:7]
	s_and_b32 s2, vcc_lo, exec_lo
	v_cmp_gt_f64_e64 s2, 0, v[20:21]
	s_cselect_b32 s10, s10, s1
	v_cmp_eq_f64_e32 vcc_lo, s[6:7], v[22:23]
	v_mul_f64 v[22:23], s[6:7], 0.5
	s_delay_alu instid0(VALU_DEP_1) | instskip(NEXT) | instid1(VALU_DEP_1)
	v_trunc_f64_e32 v[31:32], v[22:23]
	v_cmp_neq_f64_e64 s1, v[31:32], v[22:23]
	s_delay_alu instid0(VALU_DEP_1)
	s_and_b32 s1, vcc_lo, s1
	s_and_b32 s6, vcc_lo, exec_lo
	v_cndmask_b32_e64 v22, 0x3ff00000, v21, s1
	s_cselect_b32 s6, s10, 0
	s_and_b32 s7, s2, exec_lo
	s_cselect_b32 s6, s6, s10
	s_delay_alu instid0(VALU_DEP_1) | instskip(NEXT) | instid1(VALU_DEP_1)
	v_bfi_b32 v22, 0x7fffffff, v26, v22
	v_cndmask_b32_e32 v23, 0x7ff80000, v22, vcc_lo
	v_cmp_eq_f64_e32 vcc_lo, 0, v[20:21]
	s_delay_alu instid0(VALU_DEP_2) | instskip(SKIP_2) | instid1(VALU_DEP_2)
	v_cndmask_b32_e64 v22, v22, v23, s2
	v_cmp_class_f64_e64 s2, v[20:21], 0x204
	v_cndmask_b32_e64 v23, 0, v21, s1
	s_or_b32 s2, vcc_lo, s2
	s_and_b32 s7, vcc_lo, exec_lo
	v_cmp_o_f64_e32 vcc_lo, v[20:21], v[20:21]
	s_cselect_b32 s7, 0, 0x7ff00000
	s_and_b32 s1, s2, exec_lo
	v_bfi_b32 v23, 0x7fffffff, s7, v23
	s_cselect_b32 s1, 0, s6
	s_delay_alu instid0(VALU_DEP_1) | instskip(SKIP_2) | instid1(VALU_DEP_1)
	v_cndmask_b32_e64 v22, v22, v23, s2
	s_and_b32 s2, vcc_lo, exec_lo
	s_cselect_b32 s1, s1, 0
	v_cndmask_b32_e32 v21, 0x7ff80000, v22, vcc_lo
	v_mov_b32_e32 v20, s1
	s_mov_b32 s2, s12
	s_delay_alu instid0(VALU_DEP_1) | instskip(SKIP_1) | instid1(VALU_DEP_1)
	v_fma_f64 v[12:13], v[20:21], v[12:13], 1.0
	v_add_f64 v[20:21], -s[8:9], 1.0
	v_cmp_eq_f64_e32 vcc_lo, 1.0, v[20:21]
	v_frexp_mant_f64_e64 v[22:23], |v[20:21]|
	v_frexp_exp_i32_f64_e32 v26, v[20:21]
	s_and_b32 s1, vcc_lo, exec_lo
	s_delay_alu instid0(VALU_DEP_2)
	v_cmp_gt_f64_e32 vcc_lo, s[88:89], v[22:23]
	s_cselect_b32 s7, s3, 0x3fd55555
	s_cselect_b32 s6, 0, 0x55555555
	v_writelane_b32 v184, s2, 4
	v_writelane_b32 v184, s3, 5
	s_mov_b32 s2, s84
	s_and_b32 s1, vcc_lo, exec_lo
	s_cselect_b32 s13, 2.0, 0x3ff00000
	s_delay_alu instid0(VALU_DEP_4)
	v_subrev_co_ci_u32_e32 v26, vcc_lo, 0, v26, vcc_lo
	v_mul_f64 v[22:23], v[22:23], s[12:13]
	s_mov_b32 s1, s65
	v_writelane_b32 v184, s0, 6
	s_mov_b32 s12, 0xe2308c3a
	s_mov_b32 s13, 0x3e45798e
	v_writelane_b32 v184, s1, 7
	s_mov_b32 s1, s95
	v_writelane_b32 v184, s0, 8
	v_writelane_b32 v184, s1, 9
	v_writelane_b32 v184, s2, 10
	v_writelane_b32 v184, s3, 11
	v_add_f64 v[33:34], v[22:23], 1.0
	v_add_f64 v[31:32], v[22:23], -1.0
	s_delay_alu instid0(VALU_DEP_2) | instskip(NEXT) | instid1(VALU_DEP_1)
	v_add_f64 v[35:36], v[33:34], -1.0
	v_add_f64 v[22:23], v[22:23], -v[35:36]
	v_rcp_f64_e32 v[35:36], v[33:34]
	s_waitcnt_depctr 0xfff
	v_fma_f64 v[37:38], -v[33:34], v[35:36], 1.0
	s_delay_alu instid0(VALU_DEP_1) | instskip(NEXT) | instid1(VALU_DEP_1)
	v_fma_f64 v[35:36], v[37:38], v[35:36], v[35:36]
	v_fma_f64 v[37:38], -v[33:34], v[35:36], 1.0
	s_delay_alu instid0(VALU_DEP_1) | instskip(NEXT) | instid1(VALU_DEP_1)
	v_fma_f64 v[35:36], v[37:38], v[35:36], v[35:36]
	v_mul_f64 v[37:38], v[31:32], v[35:36]
	s_delay_alu instid0(VALU_DEP_1) | instskip(NEXT) | instid1(VALU_DEP_1)
	v_mul_f64 v[39:40], v[33:34], v[37:38]
	v_fma_f64 v[33:34], v[37:38], v[33:34], -v[39:40]
	s_delay_alu instid0(VALU_DEP_1) | instskip(NEXT) | instid1(VALU_DEP_1)
	v_fma_f64 v[22:23], v[37:38], v[22:23], v[33:34]
	v_add_f64 v[33:34], v[39:40], v[22:23]
	s_delay_alu instid0(VALU_DEP_1) | instskip(SKIP_1) | instid1(VALU_DEP_2)
	v_add_f64 v[41:42], v[31:32], -v[33:34]
	v_add_f64 v[39:40], v[33:34], -v[39:40]
	;; [unrolled: 1-line block ×3, first 2 shown]
	s_delay_alu instid0(VALU_DEP_2) | instskip(SKIP_1) | instid1(VALU_DEP_3)
	v_add_f64 v[22:23], v[39:40], -v[22:23]
	v_cvt_f64_i32_e32 v[39:40], v26
	v_add_f64 v[31:32], v[31:32], -v[33:34]
	s_delay_alu instid0(VALU_DEP_1) | instskip(NEXT) | instid1(VALU_DEP_1)
	v_add_f64 v[22:23], v[22:23], v[31:32]
	v_add_f64 v[22:23], v[41:42], v[22:23]
	s_delay_alu instid0(VALU_DEP_4) | instskip(NEXT) | instid1(VALU_DEP_2)
	v_mul_f64 v[41:42], v[39:40], s[58:59]
	v_mul_f64 v[22:23], v[35:36], v[22:23]
	s_delay_alu instid0(VALU_DEP_2) | instskip(SKIP_2) | instid1(VALU_DEP_2)
	v_fma_f64 v[43:44], v[39:40], s[58:59], -v[41:42]
	s_mov_b32 s58, 0xed097b42
	s_mov_b32 s59, 0x3f9e3425
	v_add_f64 v[31:32], v[37:38], v[22:23]
	s_delay_alu instid0(VALU_DEP_2) | instskip(NEXT) | instid1(VALU_DEP_2)
	v_fma_f64 v[39:40], v[39:40], s[24:25], v[43:44]
	v_add_f64 v[33:34], v[31:32], -v[37:38]
	s_delay_alu instid0(VALU_DEP_2) | instskip(NEXT) | instid1(VALU_DEP_2)
	v_add_f64 v[43:44], v[41:42], v[39:40]
	v_add_f64 v[22:23], v[22:23], -v[33:34]
	v_mul_f64 v[33:34], v[31:32], v[31:32]
	s_delay_alu instid0(VALU_DEP_3) | instskip(NEXT) | instid1(VALU_DEP_3)
	v_add_f64 v[41:42], v[43:44], -v[41:42]
	v_add_f64 v[37:38], v[22:23], v[22:23]
	s_delay_alu instid0(VALU_DEP_3) | instskip(SKIP_1) | instid1(VALU_DEP_4)
	v_fma_f64 v[35:36], v[31:32], v[31:32], -v[33:34]
	v_ldexp_f64 v[47:48], v[22:23], 1
	v_add_f64 v[39:40], v[39:40], -v[41:42]
	v_ldexp_f64 v[41:42], v[31:32], 1
	s_delay_alu instid0(VALU_DEP_4) | instskip(NEXT) | instid1(VALU_DEP_1)
	v_fma_f64 v[35:36], v[31:32], v[37:38], v[35:36]
	v_add_f64 v[37:38], v[33:34], v[35:36]
	s_delay_alu instid0(VALU_DEP_1) | instskip(SKIP_1) | instid1(VALU_DEP_2)
	v_add_f64 v[33:34], v[37:38], -v[33:34]
	v_mul_f64 v[49:50], v[31:32], v[37:38]
	v_add_f64 v[33:34], v[35:36], -v[33:34]
	v_fma_f64 v[35:36], v[37:38], s[42:43], s[62:63]
	s_delay_alu instid0(VALU_DEP_3) | instskip(SKIP_3) | instid1(VALU_DEP_2)
	v_fma_f64 v[53:54], v[37:38], v[31:32], -v[49:50]
	s_mov_b32 s42, 0x9999999a
	s_mov_b32 s43, 0x3fc99999
	;; [unrolled: 1-line block ×3, first 2 shown]
	v_fma_f64 v[35:36], v[37:38], v[35:36], s[44:45]
	s_delay_alu instid0(VALU_DEP_2) | instskip(SKIP_1) | instid1(VALU_DEP_2)
	v_fma_f64 v[22:23], v[37:38], v[22:23], v[53:54]
	s_mov_b32 s45, 0x3fd33333
	v_fma_f64 v[35:36], v[37:38], v[35:36], s[46:47]
	s_delay_alu instid0(VALU_DEP_2) | instskip(SKIP_1) | instid1(VALU_DEP_2)
	v_fma_f64 v[22:23], v[33:34], v[31:32], v[22:23]
	s_mov_b32 s47, 0xbfeccccc
	v_fma_f64 v[35:36], v[37:38], v[35:36], s[48:49]
	s_delay_alu instid0(VALU_DEP_2) | instskip(SKIP_1) | instid1(VALU_DEP_2)
	v_add_f64 v[31:32], v[49:50], v[22:23]
	s_mov_b32 s49, 0x3ff33333
	v_fma_f64 v[35:36], v[37:38], v[35:36], s[50:51]
	s_delay_alu instid0(VALU_DEP_2) | instskip(SKIP_2) | instid1(VALU_DEP_2)
	v_add_f64 v[49:50], v[31:32], -v[49:50]
	s_mov_b32 s50, 0xcccccccd
	s_mov_b32 s51, 0x3fcccccc
	v_fma_f64 v[35:36], v[37:38], v[35:36], s[52:53]
	s_delay_alu instid0(VALU_DEP_2) | instskip(SKIP_2) | instid1(VALU_DEP_2)
	v_add_f64 v[22:23], v[22:23], -v[49:50]
	s_mov_b32 s52, 0x33333333
	s_mov_b32 s53, 0x3fb33333
	v_fma_f64 v[35:36], v[37:38], v[35:36], s[54:55]
	s_mov_b32 s54, 0x84bda12f
	s_mov_b32 s55, 0xbfca12f6
	s_delay_alu instid0(VALU_DEP_1) | instskip(SKIP_2) | instid1(VALU_DEP_1)
	v_fma_f64 v[35:36], v[37:38], v[35:36], s[56:57]
	s_mov_b32 s56, 0x2f684bda
	s_mov_b32 s57, 0xc004bda1
	v_mul_f64 v[49:50], v[37:38], v[35:36]
	s_delay_alu instid0(VALU_DEP_1) | instskip(NEXT) | instid1(VALU_DEP_1)
	v_fma_f64 v[37:38], v[37:38], v[35:36], -v[49:50]
	v_fma_f64 v[33:34], v[33:34], v[35:36], v[37:38]
	s_delay_alu instid0(VALU_DEP_1) | instskip(NEXT) | instid1(VALU_DEP_1)
	v_add_f64 v[35:36], v[49:50], v[33:34]
	v_add_f64 v[37:38], v[35:36], -v[49:50]
	s_delay_alu instid0(VALU_DEP_1) | instskip(SKIP_1) | instid1(VALU_DEP_2)
	v_add_f64 v[33:34], v[33:34], -v[37:38]
	v_add_f64 v[37:38], v[35:36], s[88:89]
	v_add_f64 v[33:34], v[33:34], s[66:67]
	s_delay_alu instid0(VALU_DEP_2) | instskip(SKIP_2) | instid1(VALU_DEP_1)
	v_add_f64 v[49:50], v[37:38], s[64:65]
	s_mov_b64 s[64:65], s[4:5]
	s_mov_b32 s67, 0x3ff4bda1
	v_add_f64 v[35:36], v[35:36], -v[49:50]
	s_delay_alu instid0(VALU_DEP_1) | instskip(NEXT) | instid1(VALU_DEP_1)
	v_add_f64 v[33:34], v[33:34], v[35:36]
	v_add_f64 v[35:36], v[37:38], v[33:34]
	s_delay_alu instid0(VALU_DEP_1) | instskip(NEXT) | instid1(VALU_DEP_1)
	v_add_f64 v[37:38], v[37:38], -v[35:36]
	v_add_f64 v[33:34], v[33:34], v[37:38]
	v_mul_f64 v[37:38], v[31:32], v[35:36]
	s_delay_alu instid0(VALU_DEP_1) | instskip(NEXT) | instid1(VALU_DEP_1)
	v_fma_f64 v[49:50], v[31:32], v[35:36], -v[37:38]
	v_fma_f64 v[31:32], v[31:32], v[33:34], v[49:50]
	s_delay_alu instid0(VALU_DEP_1) | instskip(NEXT) | instid1(VALU_DEP_1)
	v_fma_f64 v[22:23], v[22:23], v[35:36], v[31:32]
	v_add_f64 v[31:32], v[37:38], v[22:23]
	s_delay_alu instid0(VALU_DEP_1) | instskip(NEXT) | instid1(VALU_DEP_1)
	v_add_f64 v[33:34], v[31:32], -v[37:38]
	v_add_f64 v[22:23], v[22:23], -v[33:34]
	v_add_f64 v[33:34], v[41:42], v[31:32]
	s_delay_alu instid0(VALU_DEP_2) | instskip(NEXT) | instid1(VALU_DEP_2)
	v_add_f64 v[22:23], v[47:48], v[22:23]
	v_add_f64 v[35:36], v[33:34], -v[41:42]
	s_delay_alu instid0(VALU_DEP_1) | instskip(NEXT) | instid1(VALU_DEP_1)
	v_add_f64 v[31:32], v[31:32], -v[35:36]
	v_add_f64 v[22:23], v[22:23], v[31:32]
	s_delay_alu instid0(VALU_DEP_1) | instskip(NEXT) | instid1(VALU_DEP_1)
	v_add_f64 v[31:32], v[33:34], v[22:23]
	v_add_f64 v[33:34], v[31:32], -v[33:34]
	s_delay_alu instid0(VALU_DEP_1) | instskip(SKIP_1) | instid1(VALU_DEP_1)
	v_add_f64 v[22:23], v[22:23], -v[33:34]
	v_add_f64 v[33:34], v[43:44], v[31:32]
	v_add_f64 v[35:36], v[33:34], -v[43:44]
	s_delay_alu instid0(VALU_DEP_1) | instskip(SKIP_2) | instid1(VALU_DEP_3)
	v_add_f64 v[37:38], v[33:34], -v[35:36]
	v_add_f64 v[31:32], v[31:32], -v[35:36]
	v_add_f64 v[35:36], v[39:40], v[22:23]
	v_add_f64 v[37:38], v[43:44], -v[37:38]
	s_delay_alu instid0(VALU_DEP_1) | instskip(NEXT) | instid1(VALU_DEP_3)
	v_add_f64 v[31:32], v[31:32], v[37:38]
	v_add_f64 v[37:38], v[35:36], -v[39:40]
	s_delay_alu instid0(VALU_DEP_2) | instskip(NEXT) | instid1(VALU_DEP_2)
	v_add_f64 v[31:32], v[35:36], v[31:32]
	v_add_f64 v[41:42], v[35:36], -v[37:38]
	v_add_f64 v[22:23], v[22:23], -v[37:38]
	s_delay_alu instid0(VALU_DEP_3) | instskip(NEXT) | instid1(VALU_DEP_3)
	v_add_f64 v[35:36], v[33:34], v[31:32]
	v_add_f64 v[39:40], v[39:40], -v[41:42]
	s_delay_alu instid0(VALU_DEP_2) | instskip(NEXT) | instid1(VALU_DEP_2)
	v_add_f64 v[33:34], v[35:36], -v[33:34]
	v_add_f64 v[22:23], v[22:23], v[39:40]
	s_delay_alu instid0(VALU_DEP_2) | instskip(NEXT) | instid1(VALU_DEP_1)
	v_add_f64 v[31:32], v[31:32], -v[33:34]
	v_add_f64 v[22:23], v[22:23], v[31:32]
	s_delay_alu instid0(VALU_DEP_1) | instskip(NEXT) | instid1(VALU_DEP_1)
	v_add_f64 v[31:32], v[35:36], v[22:23]
	v_add_f64 v[33:34], v[31:32], -v[35:36]
	s_delay_alu instid0(VALU_DEP_1) | instskip(SKIP_1) | instid1(VALU_DEP_1)
	v_add_f64 v[22:23], v[22:23], -v[33:34]
	v_mul_f64 v[33:34], s[6:7], v[31:32]
	v_fma_f64 v[31:32], s[6:7], v[31:32], -v[33:34]
	v_cmp_class_f64_e64 vcc_lo, v[33:34], 0x204
	s_delay_alu instid0(VALU_DEP_2) | instskip(NEXT) | instid1(VALU_DEP_1)
	v_fma_f64 v[22:23], s[6:7], v[22:23], v[31:32]
	v_add_f64 v[31:32], v[33:34], v[22:23]
	s_delay_alu instid0(VALU_DEP_1) | instskip(SKIP_1) | instid1(VALU_DEP_1)
	v_add_f64 v[35:36], v[31:32], -v[33:34]
	v_dual_cndmask_b32 v32, v32, v34 :: v_dual_cndmask_b32 v31, v31, v33
	v_mul_f64 v[33:34], v[31:32], s[68:69]
	v_cmp_neq_f64_e64 vcc_lo, 0x7ff00000, |v[31:32]|
	s_mov_b32 s69, 0x3feccccc
	s_delay_alu instid0(VALU_DEP_4) | instskip(NEXT) | instid1(VALU_DEP_3)
	v_add_f64 v[22:23], v[22:23], -v[35:36]
	v_rndne_f64_e32 v[33:34], v[33:34]
	s_delay_alu instid0(VALU_DEP_2) | instskip(SKIP_1) | instid1(VALU_DEP_3)
	v_dual_cndmask_b32 v23, 0, v23 :: v_dual_cndmask_b32 v22, 0, v22
	v_cmp_lt_f64_e32 vcc_lo, 0x40900000, v[31:32]
	v_fma_f64 v[35:36], v[33:34], s[94:95], v[31:32]
	v_cvt_i32_f64_e32 v26, v[33:34]
	s_mov_b32 s95, 0x3ff921fb
	s_and_b32 s1, vcc_lo, exec_lo
	v_cmp_ngt_f64_e64 s1, 0xc090cc00, v[31:32]
	s_delay_alu instid0(VALU_DEP_3) | instskip(NEXT) | instid1(VALU_DEP_1)
	v_fma_f64 v[35:36], v[33:34], s[86:87], v[35:36]
	v_fma_f64 v[37:38], v[35:36], s[74:75], s[72:73]
	s_mov_b32 s72, 0x55555511
	s_mov_b32 s74, 0x12f684be
	;; [unrolled: 1-line block ×4, first 2 shown]
	s_delay_alu instid0(VALU_DEP_1) | instskip(SKIP_2) | instid1(VALU_DEP_1)
	v_fma_f64 v[37:38], v[35:36], v[37:38], s[76:77]
	s_mov_b32 s76, 0x5ed097b4
	s_mov_b32 s77, 0x3fd99f42
	v_fma_f64 v[37:38], v[35:36], v[37:38], s[78:79]
	s_mov_b32 s78, 0x65965970
	s_mov_b32 s79, 0x3f719659
	s_delay_alu instid0(VALU_DEP_1) | instskip(SKIP_2) | instid1(VALU_DEP_1)
	v_fma_f64 v[37:38], v[35:36], v[37:38], s[80:81]
	s_mov_b32 s80, 0x9af15610
	s_mov_b32 s81, 0x3f931ddb
	v_fma_f64 v[37:38], v[35:36], v[37:38], s[82:83]
	s_mov_b32 s82, 0x8676f310
	s_mov_b32 s83, 0xbfa17cc4
	s_delay_alu instid0(VALU_DEP_1) | instskip(SKIP_2) | instid1(VALU_DEP_1)
	v_fma_f64 v[37:38], v[35:36], v[37:38], s[84:85]
	s_mov_b32 s84, 0x92492492
	s_mov_b32 s85, 0xbf93c924
	v_fma_f64 v[37:38], v[35:36], v[37:38], s[64:65]
	s_delay_alu instid0(VALU_DEP_1) | instskip(SKIP_2) | instid1(VALU_DEP_1)
	v_fma_f64 v[37:38], v[35:36], v[37:38], s[90:91]
	s_mov_b32 s90, 0x2ed5a580
	s_mov_b32 s91, 0x3fa40534
	v_fma_f64 v[37:38], v[35:36], v[37:38], s[92:93]
	s_mov_b32 s92, 0x1e900000
	s_mov_b32 s93, 0x42d6bcc4
	s_delay_alu instid0(VALU_DEP_1) | instskip(NEXT) | instid1(VALU_DEP_1)
	v_fma_f64 v[37:38], v[35:36], v[37:38], 1.0
	v_fma_f64 v[35:36], v[35:36], v[37:38], 1.0
	s_delay_alu instid0(VALU_DEP_1) | instskip(NEXT) | instid1(VALU_DEP_1)
	v_ldexp_f64 v[33:34], v[35:36], v26
	v_readfirstlane_b32 s2, v33
	s_delay_alu instid0(VALU_DEP_2) | instskip(SKIP_1) | instid1(VALU_DEP_3)
	v_cndmask_b32_e64 v26, v34, 0x7ff00000, vcc_lo
	v_and_b32_e32 v34, 0x7fffffff, v34
	s_cselect_b32 s3, 0, s2
	v_mov_b32_e32 v33, s2
	s_and_b32 s10, s1, exec_lo
	s_cselect_b32 s3, s3, 0
	v_cndmask_b32_e64 v32, 0, v26, s1
	v_mov_b32_e32 v31, s3
	v_cmp_eq_f64_e64 s2, 0x7ff00000, v[33:34]
	s_mov_b32 s10, 0x33145c00
	s_mov_b32 s11, 0xbc91a626
	s_delay_alu instid0(VALU_DEP_2) | instskip(NEXT) | instid1(VALU_DEP_2)
	v_fma_f64 v[22:23], v[31:32], v[22:23], v[31:32]
	s_or_b32 s2, vcc_lo, s2
	s_delay_alu instid0(SALU_CYCLE_1) | instskip(NEXT) | instid1(VALU_DEP_1)
	s_and_b32 vcc_lo, s1, s2
	v_readfirstlane_b32 s1, v22
	s_delay_alu instid0(VALU_DEP_2) | instskip(SKIP_4) | instid1(VALU_DEP_2)
	v_cndmask_b32_e32 v26, v23, v32, vcc_lo
	v_trunc_f64_e32 v[22:23], s[6:7]
	s_and_b32 s2, vcc_lo, exec_lo
	v_cmp_gt_f64_e64 s2, 0, v[20:21]
	s_cselect_b32 s3, s3, s1
	v_cmp_eq_f64_e32 vcc_lo, s[6:7], v[22:23]
	v_mul_f64 v[22:23], s[6:7], 0.5
	s_delay_alu instid0(VALU_DEP_1) | instskip(NEXT) | instid1(VALU_DEP_1)
	v_trunc_f64_e32 v[31:32], v[22:23]
	v_cmp_neq_f64_e64 s1, v[31:32], v[22:23]
	s_delay_alu instid0(VALU_DEP_1)
	s_and_b32 s1, vcc_lo, s1
	s_and_b32 s6, vcc_lo, exec_lo
	v_cndmask_b32_e64 v22, 0x3ff00000, v21, s1
	s_cselect_b32 s6, s3, 0
	s_and_b32 s7, s2, exec_lo
	s_cselect_b32 s3, s6, s3
	s_delay_alu instid0(VALU_DEP_1) | instskip(NEXT) | instid1(VALU_DEP_1)
	v_bfi_b32 v22, 0x7fffffff, v26, v22
	v_dual_cndmask_b32 v23, 0x7ff80000, v22 :: v_dual_and_b32 v26, 1, v77
	v_cmp_eq_f64_e32 vcc_lo, 0, v[20:21]
	s_delay_alu instid0(VALU_DEP_2) | instskip(SKIP_2) | instid1(VALU_DEP_2)
	v_cndmask_b32_e64 v22, v22, v23, s2
	v_cmp_class_f64_e64 s2, v[20:21], 0x204
	v_cndmask_b32_e64 v23, 0, v21, s1
	s_or_b32 s2, vcc_lo, s2
	s_and_b32 s6, vcc_lo, exec_lo
	v_cmp_o_f64_e32 vcc_lo, v[20:21], v[20:21]
	s_cselect_b32 s6, 0, 0x7ff00000
	s_and_b32 s1, s2, exec_lo
	v_bfi_b32 v23, 0x7fffffff, s6, v23
	s_cselect_b32 s1, 0, s3
	s_mov_b32 s6, 0x252049c0
	s_mov_b32 s7, 0xb97b839a
	s_delay_alu instid0(VALU_DEP_1) | instskip(SKIP_2) | instid1(VALU_DEP_1)
	v_cndmask_b32_e64 v22, v22, v23, s2
	s_and_b32 s2, vcc_lo, exec_lo
	s_cselect_b32 s1, s1, 0
	v_cndmask_b32_e32 v21, 0x7ff80000, v22, vcc_lo
	v_mov_b32_e32 v20, s1
	s_delay_alu instid0(VALU_DEP_1) | instskip(SKIP_1) | instid1(VALU_DEP_2)
	v_add_f64 v[12:13], v[20:21], v[12:13]
	v_mul_f64 v[20:21], 0x40080000, s[8:9]
	v_mul_f64 v[22:23], v[12:13], v[12:13]
	s_delay_alu instid0(VALU_DEP_1) | instskip(NEXT) | instid1(VALU_DEP_1)
	v_fma_f64 v[20:21], s[8:9], v[20:21], v[22:23]
	v_cmp_gt_f64_e32 vcc_lo, 0x10000000, v[20:21]
	v_cndmask_b32_e64 v22, 0, 1, vcc_lo
	s_and_b32 s1, vcc_lo, exec_lo
	s_cselect_b32 s1, 0xffffff80, 0
	s_delay_alu instid0(VALU_DEP_1) | instskip(NEXT) | instid1(VALU_DEP_1)
	v_lshlrev_b32_e32 v22, 8, v22
	v_ldexp_f64 v[20:21], v[20:21], v22
	s_delay_alu instid0(VALU_DEP_1) | instskip(SKIP_4) | instid1(VALU_DEP_1)
	v_rsq_f64_e32 v[22:23], v[20:21]
	v_cmp_class_f64_e64 vcc_lo, v[20:21], 0x260
	s_waitcnt_depctr 0xfff
	v_mul_f64 v[31:32], v[20:21], v[22:23]
	v_mul_f64 v[22:23], v[22:23], 0.5
	v_fma_f64 v[33:34], -v[22:23], v[31:32], 0.5
	s_delay_alu instid0(VALU_DEP_1) | instskip(SKIP_1) | instid1(VALU_DEP_2)
	v_fma_f64 v[31:32], v[31:32], v[33:34], v[31:32]
	v_fma_f64 v[22:23], v[22:23], v[33:34], v[22:23]
	v_fma_f64 v[35:36], -v[31:32], v[31:32], v[20:21]
	s_delay_alu instid0(VALU_DEP_1) | instskip(NEXT) | instid1(VALU_DEP_1)
	v_fma_f64 v[31:32], v[35:36], v[22:23], v[31:32]
	v_fma_f64 v[33:34], -v[31:32], v[31:32], v[20:21]
	s_delay_alu instid0(VALU_DEP_1) | instskip(SKIP_2) | instid1(VALU_DEP_3)
	v_fma_f64 v[22:23], v[33:34], v[22:23], v[31:32]
	v_add_f64 v[31:32], 0x40080000, -v[12:13]
	v_add_f64 v[12:13], 0x40080000, v[12:13]
	v_ldexp_f64 v[22:23], v[22:23], s1
	s_delay_alu instid0(VALU_DEP_1) | instskip(NEXT) | instid1(VALU_DEP_1)
	v_dual_cndmask_b32 v21, v23, v21 :: v_dual_cndmask_b32 v20, v22, v20
	v_fma_f64 v[12:13], v[20:21], 2.0, v[12:13]
	v_add_f64 v[22:23], 0x40080000, v[20:21]
	s_delay_alu instid0(VALU_DEP_2) | instskip(NEXT) | instid1(VALU_DEP_1)
	v_mul_f64 v[12:13], v[31:32], v[12:13]
	v_cmp_gt_f64_e32 vcc_lo, 0x10000000, v[12:13]
	v_cndmask_b32_e64 v20, 0, 1, vcc_lo
	s_and_b32 s1, vcc_lo, exec_lo
	s_cselect_b32 s1, 0xffffff80, 0
	s_delay_alu instid0(VALU_DEP_1) | instskip(NEXT) | instid1(VALU_DEP_1)
	v_lshlrev_b32_e32 v20, 8, v20
	v_ldexp_f64 v[12:13], v[12:13], v20
	s_delay_alu instid0(VALU_DEP_1) | instskip(SKIP_4) | instid1(VALU_DEP_1)
	v_rsq_f64_e32 v[20:21], v[12:13]
	v_cmp_class_f64_e64 vcc_lo, v[12:13], 0x260
	s_waitcnt_depctr 0xfff
	v_mul_f64 v[31:32], v[12:13], v[20:21]
	v_mul_f64 v[20:21], v[20:21], 0.5
	v_fma_f64 v[33:34], -v[20:21], v[31:32], 0.5
	s_delay_alu instid0(VALU_DEP_1) | instskip(SKIP_1) | instid1(VALU_DEP_2)
	v_fma_f64 v[31:32], v[31:32], v[33:34], v[31:32]
	v_fma_f64 v[20:21], v[20:21], v[33:34], v[20:21]
	v_fma_f64 v[35:36], -v[31:32], v[31:32], v[12:13]
	s_delay_alu instid0(VALU_DEP_1) | instskip(NEXT) | instid1(VALU_DEP_1)
	v_fma_f64 v[31:32], v[35:36], v[20:21], v[31:32]
	v_fma_f64 v[33:34], -v[31:32], v[31:32], v[12:13]
	s_delay_alu instid0(VALU_DEP_1) | instskip(NEXT) | instid1(VALU_DEP_1)
	v_fma_f64 v[20:21], v[33:34], v[20:21], v[31:32]
	v_ldexp_f64 v[20:21], v[20:21], s1
	s_mov_b32 s1, s89
	s_delay_alu instid0(VALU_DEP_1) | instskip(SKIP_2) | instid1(VALU_DEP_3)
	v_dual_cndmask_b32 v13, v21, v13 :: v_dual_cndmask_b32 v12, v20, v12
	v_mul_f64 v[20:21], v[57:58], v[57:58]
	v_cmp_eq_u32_e32 vcc_lo, 0, v26
	v_add_f64 v[12:13], v[22:23], -v[12:13]
	s_delay_alu instid0(VALU_DEP_3) | instskip(SKIP_1) | instid1(VALU_DEP_3)
	v_mul_f64 v[22:23], v[20:21], 0.5
	v_fma_f64 v[35:36], v[20:21], s[16:17], s[14:15]
	v_cvt_f32_f64_e32 v12, v[12:13]
	s_delay_alu instid0(VALU_DEP_3) | instskip(NEXT) | instid1(VALU_DEP_3)
	v_add_f64 v[31:32], -v[22:23], 1.0
	v_fma_f64 v[35:36], v[20:21], v[35:36], s[18:19]
	s_delay_alu instid0(VALU_DEP_3) | instskip(NEXT) | instid1(VALU_DEP_3)
	v_cvt_f64_f32_e32 v[12:13], v12
	v_add_f64 v[33:34], -v[31:32], 1.0
	s_delay_alu instid0(VALU_DEP_3) | instskip(NEXT) | instid1(VALU_DEP_2)
	v_fma_f64 v[35:36], v[20:21], v[35:36], s[20:21]
	v_add_f64 v[22:23], v[33:34], -v[22:23]
	s_delay_alu instid0(VALU_DEP_2) | instskip(SKIP_1) | instid1(VALU_DEP_3)
	v_fma_f64 v[35:36], v[20:21], v[35:36], s[22:23]
	v_mul_f64 v[33:34], v[20:21], v[20:21]
	v_fma_f64 v[22:23], v[57:58], -v[59:60], v[22:23]
	s_delay_alu instid0(VALU_DEP_3) | instskip(NEXT) | instid1(VALU_DEP_1)
	v_fma_f64 v[35:36], v[20:21], v[35:36], s[60:61]
	v_fma_f64 v[22:23], v[33:34], v[35:36], v[22:23]
	v_mul_f64 v[33:34], v[57:58], -v[20:21]
	v_mul_f64 v[35:36], v[59:60], 0.5
	s_delay_alu instid0(VALU_DEP_3) | instskip(SKIP_1) | instid1(VALU_DEP_1)
	v_add_f64 v[22:23], v[31:32], v[22:23]
	v_fma_f64 v[31:32], v[20:21], s[28:29], s[26:27]
	v_fma_f64 v[31:32], v[20:21], v[31:32], s[30:31]
	s_delay_alu instid0(VALU_DEP_1) | instskip(NEXT) | instid1(VALU_DEP_1)
	v_fma_f64 v[31:32], v[20:21], v[31:32], s[34:35]
	v_fma_f64 v[31:32], v[20:21], v[31:32], s[36:37]
	s_delay_alu instid0(VALU_DEP_1) | instskip(NEXT) | instid1(VALU_DEP_1)
	v_fma_f64 v[31:32], v[33:34], v[31:32], v[35:36]
	v_fma_f64 v[20:21], v[20:21], v[31:32], -v[59:60]
	v_fma_f64 v[31:32], v[2:3], -2.0, v[18:19]
	s_delay_alu instid0(VALU_DEP_2) | instskip(SKIP_2) | instid1(VALU_DEP_3)
	v_fma_f64 v[20:21], v[33:34], s[38:39], v[20:21]
	v_mul_f64 v[33:34], v[18:19], v[16:17]
	v_mul_f64 v[16:17], v[16:17], v[16:17]
	v_add_f64 v[20:21], v[57:58], -v[20:21]
	s_delay_alu instid0(VALU_DEP_1) | instskip(SKIP_1) | instid1(VALU_DEP_3)
	v_cndmask_b32_e32 v20, v22, v20, vcc_lo
	v_lshlrev_b32_e32 v22, 30, v77
	v_cndmask_b32_e32 v21, v23, v21, vcc_lo
	s_delay_alu instid0(VALU_DEP_3) | instskip(NEXT) | instid1(VALU_DEP_3)
	v_cndmask_b32_e64 v20, 0, v20, s0
	v_xor_b32_e32 v22, v22, v5
	s_delay_alu instid0(VALU_DEP_1) | instskip(NEXT) | instid1(VALU_DEP_1)
	v_and_b32_e32 v22, 0x80000000, v22
	v_xor_b32_e32 v21, v21, v22
	s_delay_alu instid0(VALU_DEP_1) | instskip(NEXT) | instid1(VALU_DEP_1)
	v_cndmask_b32_e64 v21, 0x7ff80000, v21, s0
	v_mul_f64 v[22:23], v[20:21], v[20:21]
	v_fma_f64 v[20:21], v[2:3], -2.0, v[45:46]
	v_mov_b32_e32 v46, 0
	v_mov_b32_e32 v47, 0x3fe00000
	s_delay_alu instid0(VALU_DEP_3) | instskip(NEXT) | instid1(VALU_DEP_1)
	v_add_f64 v[20:21], v[6:7], v[20:21]
	v_div_scale_f64 v[35:36], null, v[20:21], v[20:21], v[33:34]
	s_delay_alu instid0(VALU_DEP_1) | instskip(SKIP_2) | instid1(VALU_DEP_1)
	v_rcp_f64_e32 v[37:38], v[35:36]
	s_waitcnt_depctr 0xfff
	v_fma_f64 v[39:40], -v[35:36], v[37:38], 1.0
	v_fma_f64 v[37:38], v[37:38], v[39:40], v[37:38]
	s_delay_alu instid0(VALU_DEP_1) | instskip(NEXT) | instid1(VALU_DEP_1)
	v_fma_f64 v[39:40], -v[35:36], v[37:38], 1.0
	v_fma_f64 v[37:38], v[37:38], v[39:40], v[37:38]
	v_div_scale_f64 v[39:40], vcc_lo, v[33:34], v[20:21], v[33:34]
	s_delay_alu instid0(VALU_DEP_1) | instskip(NEXT) | instid1(VALU_DEP_1)
	v_mul_f64 v[41:42], v[39:40], v[37:38]
	v_fma_f64 v[35:36], -v[35:36], v[41:42], v[39:40]
	s_delay_alu instid0(VALU_DEP_1) | instskip(SKIP_1) | instid1(VALU_DEP_2)
	v_div_fmas_f64 v[35:36], v[35:36], v[37:38], v[41:42]
	v_div_scale_f64 v[37:38], null, v[20:21], v[20:21], v[16:17]
	v_div_fixup_f64 v[33:34], v[35:36], v[20:21], v[33:34]
	s_delay_alu instid0(VALU_DEP_2) | instskip(SKIP_4) | instid1(VALU_DEP_1)
	v_rcp_f64_e32 v[39:40], v[37:38]
	v_mul_f64 v[35:36], v[18:19], v[14:15]
	v_mul_f64 v[18:19], v[20:21], v[18:19]
	s_waitcnt_depctr 0xfff
	v_fma_f64 v[41:42], -v[37:38], v[39:40], 1.0
	v_fma_f64 v[39:40], v[39:40], v[41:42], v[39:40]
	s_delay_alu instid0(VALU_DEP_1) | instskip(NEXT) | instid1(VALU_DEP_1)
	v_fma_f64 v[41:42], -v[37:38], v[39:40], 1.0
	v_fma_f64 v[39:40], v[39:40], v[41:42], v[39:40]
	v_div_scale_f64 v[41:42], vcc_lo, v[16:17], v[20:21], v[16:17]
	s_delay_alu instid0(VALU_DEP_1) | instskip(NEXT) | instid1(VALU_DEP_1)
	v_mul_f64 v[43:44], v[41:42], v[39:40]
	v_fma_f64 v[37:38], -v[37:38], v[43:44], v[41:42]
	s_delay_alu instid0(VALU_DEP_1) | instskip(NEXT) | instid1(VALU_DEP_1)
	v_div_fmas_f64 v[37:38], v[37:38], v[39:40], v[43:44]
	v_div_fixup_f64 v[16:17], v[37:38], v[20:21], v[16:17]
	s_delay_alu instid0(VALU_DEP_1) | instskip(SKIP_2) | instid1(VALU_DEP_2)
	v_fma_f64 v[14:15], v[14:15], v[14:15], v[16:17]
	v_mul_f64 v[16:17], v[20:21], v[22:23]
	v_mul_f64 v[20:21], v[0:1], v[2:3]
	;; [unrolled: 1-line block ×3, first 2 shown]
	s_delay_alu instid0(VALU_DEP_1) | instskip(NEXT) | instid1(VALU_DEP_1)
	v_mul_f64 v[16:17], v[51:52], v[16:17]
	v_fma_f64 v[14:15], v[31:32], v[14:15], v[16:17]
	s_delay_alu instid0(VALU_DEP_1) | instskip(SKIP_2) | instid1(VALU_DEP_2)
	v_cmp_gt_f64_e32 vcc_lo, 0x10000000, v[14:15]
	v_cndmask_b32_e64 v16, 0, 1, vcc_lo
	v_cndmask_b32_e64 v26, 0, 0xffffff80, vcc_lo
	v_lshlrev_b32_e32 v16, 8, v16
	s_delay_alu instid0(VALU_DEP_1) | instskip(NEXT) | instid1(VALU_DEP_1)
	v_ldexp_f64 v[14:15], v[14:15], v16
	v_rsq_f64_e32 v[16:17], v[14:15]
	v_cmp_class_f64_e64 vcc_lo, v[14:15], 0x260
	s_waitcnt_depctr 0xfff
	v_mul_f64 v[37:38], v[14:15], v[16:17]
	v_mul_f64 v[16:17], v[16:17], 0.5
	s_delay_alu instid0(VALU_DEP_1) | instskip(NEXT) | instid1(VALU_DEP_1)
	v_fma_f64 v[39:40], -v[16:17], v[37:38], 0.5
	v_fma_f64 v[37:38], v[37:38], v[39:40], v[37:38]
	v_fma_f64 v[16:17], v[16:17], v[39:40], v[16:17]
	s_delay_alu instid0(VALU_DEP_2) | instskip(NEXT) | instid1(VALU_DEP_1)
	v_fma_f64 v[41:42], -v[37:38], v[37:38], v[14:15]
	v_fma_f64 v[37:38], v[41:42], v[16:17], v[37:38]
	s_delay_alu instid0(VALU_DEP_1) | instskip(NEXT) | instid1(VALU_DEP_1)
	v_fma_f64 v[39:40], -v[37:38], v[37:38], v[14:15]
	v_fma_f64 v[16:17], v[39:40], v[16:17], v[37:38]
	s_delay_alu instid0(VALU_DEP_1) | instskip(SKIP_1) | instid1(VALU_DEP_1)
	v_ldexp_f64 v[16:17], v[16:17], v26
	v_mov_b32_e32 v26, 0
	v_dual_mov_b32 v25, v26 :: v_dual_cndmask_b32 v38, v17, v15
	s_delay_alu instid0(VALU_DEP_3) | instskip(NEXT) | instid1(VALU_DEP_1)
	v_cndmask_b32_e32 v37, v16, v14, vcc_lo
	v_div_scale_f64 v[14:15], null, v[37:38], v[37:38], v[33:34]
	v_mul_f64 v[20:21], v[20:21], v[37:38]
	s_delay_alu instid0(VALU_DEP_2) | instskip(NEXT) | instid1(VALU_DEP_1)
	v_rcp_f64_e32 v[16:17], v[14:15]
	v_fma_f64 v[18:19], v[18:19], v[51:52], -v[20:21]
	s_waitcnt_depctr 0xfff
	v_fma_f64 v[39:40], -v[14:15], v[16:17], 1.0
	v_mul_f64 v[18:19], v[22:23], v[18:19]
	s_delay_alu instid0(VALU_DEP_2) | instskip(NEXT) | instid1(VALU_DEP_2)
	v_fma_f64 v[16:17], v[16:17], v[39:40], v[16:17]
	v_div_scale_f64 v[20:21], null, v[31:32], v[31:32], v[18:19]
	s_delay_alu instid0(VALU_DEP_2) | instskip(NEXT) | instid1(VALU_DEP_1)
	v_fma_f64 v[39:40], -v[14:15], v[16:17], 1.0
	v_fma_f64 v[16:17], v[16:17], v[39:40], v[16:17]
	v_div_scale_f64 v[39:40], vcc_lo, v[33:34], v[37:38], v[33:34]
	s_delay_alu instid0(VALU_DEP_1) | instskip(NEXT) | instid1(VALU_DEP_1)
	v_mul_f64 v[41:42], v[39:40], v[16:17]
	v_fma_f64 v[14:15], -v[14:15], v[41:42], v[39:40]
	s_delay_alu instid0(VALU_DEP_1) | instskip(SKIP_1) | instid1(VALU_DEP_2)
	v_div_fmas_f64 v[14:15], v[14:15], v[16:17], v[41:42]
	v_div_scale_f64 v[16:17], null, v[37:38], v[37:38], v[35:36]
	v_div_fixup_f64 v[14:15], v[14:15], v[37:38], v[33:34]
	s_delay_alu instid0(VALU_DEP_2) | instskip(SKIP_2) | instid1(VALU_DEP_1)
	v_rcp_f64_e32 v[33:34], v[16:17]
	s_waitcnt_depctr 0xfff
	v_fma_f64 v[39:40], -v[16:17], v[33:34], 1.0
	v_fma_f64 v[33:34], v[33:34], v[39:40], v[33:34]
	s_delay_alu instid0(VALU_DEP_1) | instskip(NEXT) | instid1(VALU_DEP_1)
	v_fma_f64 v[39:40], -v[16:17], v[33:34], 1.0
	v_fma_f64 v[33:34], v[33:34], v[39:40], v[33:34]
	v_div_scale_f64 v[39:40], vcc_lo, v[35:36], v[37:38], v[35:36]
	s_delay_alu instid0(VALU_DEP_1) | instskip(NEXT) | instid1(VALU_DEP_1)
	v_mul_f64 v[41:42], v[39:40], v[33:34]
	v_fma_f64 v[16:17], -v[16:17], v[41:42], v[39:40]
	s_delay_alu instid0(VALU_DEP_1) | instskip(SKIP_1) | instid1(VALU_DEP_1)
	v_div_fmas_f64 v[16:17], v[16:17], v[33:34], v[41:42]
	v_rcp_f64_e32 v[33:34], v[20:21]
	v_div_fixup_f64 v[16:17], v[16:17], v[37:38], v[35:36]
	s_waitcnt_depctr 0xfff
	v_fma_f64 v[35:36], -v[20:21], v[33:34], 1.0
	s_delay_alu instid0(VALU_DEP_1) | instskip(NEXT) | instid1(VALU_DEP_1)
	v_fma_f64 v[33:34], v[33:34], v[35:36], v[33:34]
	v_fma_f64 v[35:36], -v[20:21], v[33:34], 1.0
	s_delay_alu instid0(VALU_DEP_1) | instskip(SKIP_1) | instid1(VALU_DEP_1)
	v_fma_f64 v[33:34], v[33:34], v[35:36], v[33:34]
	v_div_scale_f64 v[35:36], vcc_lo, v[18:19], v[31:32], v[18:19]
	v_mul_f64 v[39:40], v[35:36], v[33:34]
	s_delay_alu instid0(VALU_DEP_1) | instskip(NEXT) | instid1(VALU_DEP_1)
	v_fma_f64 v[20:21], -v[20:21], v[39:40], v[35:36]
	v_div_fmas_f64 v[20:21], v[20:21], v[33:34], v[39:40]
	s_delay_alu instid0(VALU_DEP_1) | instskip(NEXT) | instid1(VALU_DEP_1)
	v_div_fixup_f64 v[18:19], v[20:21], v[31:32], v[18:19]
	v_div_scale_f64 v[20:21], null, v[37:38], v[37:38], v[18:19]
	s_delay_alu instid0(VALU_DEP_1) | instskip(SKIP_2) | instid1(VALU_DEP_1)
	v_rcp_f64_e32 v[31:32], v[20:21]
	s_waitcnt_depctr 0xfff
	v_fma_f64 v[33:34], -v[20:21], v[31:32], 1.0
	v_fma_f64 v[31:32], v[31:32], v[33:34], v[31:32]
	s_delay_alu instid0(VALU_DEP_1) | instskip(NEXT) | instid1(VALU_DEP_1)
	v_fma_f64 v[33:34], -v[20:21], v[31:32], 1.0
	v_fma_f64 v[31:32], v[31:32], v[33:34], v[31:32]
	v_div_scale_f64 v[33:34], vcc_lo, v[18:19], v[37:38], v[18:19]
	s_delay_alu instid0(VALU_DEP_1) | instskip(NEXT) | instid1(VALU_DEP_1)
	v_mul_f64 v[35:36], v[33:34], v[31:32]
	v_fma_f64 v[20:21], -v[20:21], v[35:36], v[33:34]
	s_delay_alu instid0(VALU_DEP_1) | instskip(NEXT) | instid1(VALU_DEP_1)
	v_div_fmas_f64 v[20:21], v[20:21], v[31:32], v[35:36]
	v_div_fixup_f64 v[18:19], v[20:21], v[37:38], v[18:19]
	v_mul_f64 v[20:21], v[16:17], v[16:17]
	s_delay_alu instid0(VALU_DEP_1) | instskip(NEXT) | instid1(VALU_DEP_3)
	v_fma_f64 v[31:32], v[6:7], v[22:23], v[20:21]
	v_mul_f64 v[20:21], v[18:19], v[18:19]
	s_delay_alu instid0(VALU_DEP_1) | instskip(NEXT) | instid1(VALU_DEP_1)
	v_div_scale_f64 v[33:34], null, v[22:23], v[22:23], v[20:21]
	v_rcp_f64_e32 v[35:36], v[33:34]
	s_waitcnt_depctr 0xfff
	v_fma_f64 v[37:38], -v[33:34], v[35:36], 1.0
	s_delay_alu instid0(VALU_DEP_1) | instskip(NEXT) | instid1(VALU_DEP_1)
	v_fma_f64 v[35:36], v[35:36], v[37:38], v[35:36]
	v_fma_f64 v[37:38], -v[33:34], v[35:36], 1.0
	s_delay_alu instid0(VALU_DEP_1) | instskip(SKIP_1) | instid1(VALU_DEP_1)
	v_fma_f64 v[35:36], v[35:36], v[37:38], v[35:36]
	v_div_scale_f64 v[37:38], vcc_lo, v[20:21], v[22:23], v[20:21]
	v_mul_f64 v[39:40], v[37:38], v[35:36]
	s_delay_alu instid0(VALU_DEP_1) | instskip(NEXT) | instid1(VALU_DEP_1)
	v_fma_f64 v[33:34], -v[33:34], v[39:40], v[37:38]
	v_div_fmas_f64 v[33:34], v[33:34], v[35:36], v[39:40]
	s_delay_alu instid0(VALU_DEP_1) | instskip(NEXT) | instid1(VALU_DEP_1)
	v_div_fixup_f64 v[22:23], v[33:34], v[22:23], v[20:21]
	v_add_f64 v[22:23], v[31:32], v[22:23]
	v_lshlrev_b64 v[31:32], 3, v[24:25]
	s_delay_alu instid0(VALU_DEP_1) | instskip(NEXT) | instid1(VALU_DEP_2)
	v_add_co_u32 v31, vcc_lo, s40, v31
	v_add_co_ci_u32_e32 v32, vcc_lo, s41, v32, vcc_lo
	global_store_b64 v[31:32], v[29:30], off
	v_dual_mov_b32 v30, v26 :: v_dual_add_nc_u32 v29, 1, v24
	s_delay_alu instid0(VALU_DEP_1) | instskip(NEXT) | instid1(VALU_DEP_1)
	v_lshlrev_b64 v[29:30], 3, v[29:30]
	v_add_co_u32 v29, vcc_lo, s40, v29
	v_writelane_b32 v184, s40, 12
	s_delay_alu instid0(VALU_DEP_3)
	v_add_co_ci_u32_e32 v30, vcc_lo, s41, v30, vcc_lo
	v_cmp_gt_f64_e32 vcc_lo, 0x10000000, v[12:13]
	v_writelane_b32 v184, s41, 13
	global_store_b64 v[29:30], v[27:28], off
	v_mul_f64 v[30:31], v[12:13], v[12:13]
	v_mul_f64 v[28:29], v[0:1], v[18:19]
	v_cndmask_b32_e64 v25, 0, 1, vcc_lo
	s_and_b32 s0, vcc_lo, exec_lo
	s_cselect_b32 s0, 0xffffff80, 0
	s_delay_alu instid0(VALU_DEP_1) | instskip(NEXT) | instid1(VALU_DEP_1)
	v_lshlrev_b32_e32 v25, 8, v25
	v_ldexp_f64 v[32:33], v[12:13], v25
	s_delay_alu instid0(VALU_DEP_1) | instskip(SKIP_4) | instid1(VALU_DEP_1)
	v_rsq_f64_e32 v[34:35], v[32:33]
	v_cmp_class_f64_e64 vcc_lo, v[32:33], 0x260
	s_waitcnt_depctr 0xfff
	v_mul_f64 v[36:37], v[32:33], v[34:35]
	v_mul_f64 v[34:35], v[34:35], 0.5
	v_fma_f64 v[38:39], -v[34:35], v[36:37], 0.5
	s_delay_alu instid0(VALU_DEP_1) | instskip(SKIP_1) | instid1(VALU_DEP_2)
	v_fma_f64 v[36:37], v[36:37], v[38:39], v[36:37]
	v_fma_f64 v[34:35], v[34:35], v[38:39], v[34:35]
	v_fma_f64 v[40:41], -v[36:37], v[36:37], v[32:33]
	s_delay_alu instid0(VALU_DEP_1) | instskip(NEXT) | instid1(VALU_DEP_1)
	v_fma_f64 v[36:37], v[40:41], v[34:35], v[36:37]
	v_fma_f64 v[38:39], -v[36:37], v[36:37], v[32:33]
	s_delay_alu instid0(VALU_DEP_1) | instskip(NEXT) | instid1(VALU_DEP_1)
	v_fma_f64 v[34:35], v[38:39], v[34:35], v[36:37]
	v_ldexp_f64 v[34:35], v[34:35], s0
	s_delay_alu instid0(VALU_DEP_1) | instskip(NEXT) | instid1(VALU_DEP_1)
	v_dual_cndmask_b32 v33, v35, v33 :: v_dual_cndmask_b32 v32, v34, v32
	v_fma_f64 v[34:35], -v[0:1], v[32:33], v[30:31]
	v_mul_f64 v[30:31], v[30:31], v[12:13]
	s_delay_alu instid0(VALU_DEP_2) | instskip(NEXT) | instid1(VALU_DEP_2)
	v_add_f64 v[34:35], v[6:7], v[34:35]
	v_cmp_gt_f64_e32 vcc_lo, 0x10000000, v[30:31]
	v_cndmask_b32_e64 v25, 0, 1, vcc_lo
	s_and_b32 s0, vcc_lo, exec_lo
	s_cselect_b32 s0, 0xffffff80, 0
	s_delay_alu instid0(VALU_DEP_1) | instskip(NEXT) | instid1(VALU_DEP_1)
	v_lshlrev_b32_e32 v25, 8, v25
	v_ldexp_f64 v[30:31], v[30:31], v25
	s_delay_alu instid0(VALU_DEP_1) | instskip(SKIP_4) | instid1(VALU_DEP_1)
	v_rsq_f64_e32 v[36:37], v[30:31]
	v_cmp_class_f64_e64 vcc_lo, v[30:31], 0x260
	s_waitcnt_depctr 0xfff
	v_mul_f64 v[38:39], v[30:31], v[36:37]
	v_mul_f64 v[36:37], v[36:37], 0.5
	v_fma_f64 v[40:41], -v[36:37], v[38:39], 0.5
	s_delay_alu instid0(VALU_DEP_1) | instskip(SKIP_1) | instid1(VALU_DEP_2)
	v_fma_f64 v[38:39], v[38:39], v[40:41], v[38:39]
	v_fma_f64 v[36:37], v[36:37], v[40:41], v[36:37]
	v_fma_f64 v[42:43], -v[38:39], v[38:39], v[30:31]
	s_delay_alu instid0(VALU_DEP_1) | instskip(NEXT) | instid1(VALU_DEP_1)
	v_fma_f64 v[38:39], v[42:43], v[36:37], v[38:39]
	v_fma_f64 v[40:41], -v[38:39], v[38:39], v[30:31]
	s_delay_alu instid0(VALU_DEP_1) | instskip(NEXT) | instid1(VALU_DEP_1)
	v_fma_f64 v[36:37], v[40:41], v[36:37], v[38:39]
	v_ldexp_f64 v[36:37], v[36:37], s0
	v_writelane_b32 v184, s0, 14
	v_writelane_b32 v184, s1, 15
	s_delay_alu instid0(VALU_DEP_3) | instskip(NEXT) | instid1(VALU_DEP_1)
	v_dual_cndmask_b32 v31, v37, v31 :: v_dual_cndmask_b32 v30, v36, v30
	v_fma_f64 v[30:31], v[32:33], -2.0, v[30:31]
	s_delay_alu instid0(VALU_DEP_1) | instskip(NEXT) | instid1(VALU_DEP_1)
	v_add_f64 v[30:31], s[8:9], v[30:31]
	v_div_scale_f64 v[32:33], null, v[30:31], v[30:31], v[34:35]
	s_delay_alu instid0(VALU_DEP_1) | instskip(SKIP_2) | instid1(VALU_DEP_1)
	v_rcp_f64_e32 v[36:37], v[32:33]
	s_waitcnt_depctr 0xfff
	v_fma_f64 v[38:39], -v[32:33], v[36:37], 1.0
	v_fma_f64 v[36:37], v[36:37], v[38:39], v[36:37]
	s_delay_alu instid0(VALU_DEP_1) | instskip(NEXT) | instid1(VALU_DEP_1)
	v_fma_f64 v[38:39], -v[32:33], v[36:37], 1.0
	v_fma_f64 v[36:37], v[36:37], v[38:39], v[36:37]
	v_div_scale_f64 v[38:39], vcc_lo, v[34:35], v[30:31], v[34:35]
	s_delay_alu instid0(VALU_DEP_1) | instskip(NEXT) | instid1(VALU_DEP_1)
	v_mul_f64 v[40:41], v[38:39], v[36:37]
	v_fma_f64 v[32:33], -v[32:33], v[40:41], v[38:39]
	s_delay_alu instid0(VALU_DEP_1) | instskip(NEXT) | instid1(VALU_DEP_1)
	v_div_fmas_f64 v[32:33], v[32:33], v[36:37], v[40:41]
	v_div_fixup_f64 v[30:31], v[32:33], v[30:31], v[34:35]
	v_div_scale_f64 v[32:33], null, v[12:13], v[12:13], s[88:89]
	s_delay_alu instid0(VALU_DEP_1) | instskip(SKIP_2) | instid1(VALU_DEP_1)
	v_rcp_f64_e32 v[34:35], v[32:33]
	s_waitcnt_depctr 0xfff
	v_fma_f64 v[36:37], -v[32:33], v[34:35], 1.0
	v_fma_f64 v[34:35], v[34:35], v[36:37], v[34:35]
	s_delay_alu instid0(VALU_DEP_1) | instskip(NEXT) | instid1(VALU_DEP_1)
	v_fma_f64 v[36:37], -v[32:33], v[34:35], 1.0
	v_fma_f64 v[34:35], v[34:35], v[36:37], v[34:35]
	v_div_scale_f64 v[36:37], vcc_lo, s[88:89], v[12:13], s[88:89]
	s_delay_alu instid0(VALU_DEP_1) | instskip(NEXT) | instid1(VALU_DEP_1)
	v_mul_f64 v[38:39], v[36:37], v[34:35]
	v_fma_f64 v[32:33], -v[32:33], v[38:39], v[36:37]
	s_delay_alu instid0(VALU_DEP_1) | instskip(NEXT) | instid1(VALU_DEP_1)
	v_div_fmas_f64 v[32:33], v[32:33], v[34:35], v[38:39]
	v_div_fixup_f64 v[36:37], v[32:33], v[12:13], s[88:89]
	s_delay_alu instid0(VALU_DEP_1) | instskip(NEXT) | instid1(VALU_DEP_1)
	v_add_f64 v[32:33], -v[36:37], 1.0
	v_cmp_gt_f64_e32 vcc_lo, 0x10000000, v[32:33]
	v_cndmask_b32_e64 v25, 0, 1, vcc_lo
	s_and_b32 s0, vcc_lo, exec_lo
	s_cselect_b32 s0, 0xffffff80, 0
	s_delay_alu instid0(VALU_DEP_1) | instskip(NEXT) | instid1(VALU_DEP_1)
	v_lshlrev_b32_e32 v25, 8, v25
	v_ldexp_f64 v[32:33], v[32:33], v25
	s_delay_alu instid0(VALU_DEP_1) | instskip(SKIP_4) | instid1(VALU_DEP_1)
	v_rsq_f64_e32 v[34:35], v[32:33]
	v_cmp_class_f64_e64 vcc_lo, v[32:33], 0x260
	s_waitcnt_depctr 0xfff
	v_mul_f64 v[38:39], v[32:33], v[34:35]
	v_mul_f64 v[34:35], v[34:35], 0.5
	v_fma_f64 v[40:41], -v[34:35], v[38:39], 0.5
	s_delay_alu instid0(VALU_DEP_1) | instskip(SKIP_1) | instid1(VALU_DEP_2)
	v_fma_f64 v[38:39], v[38:39], v[40:41], v[38:39]
	v_fma_f64 v[34:35], v[34:35], v[40:41], v[34:35]
	v_fma_f64 v[42:43], -v[38:39], v[38:39], v[32:33]
	s_delay_alu instid0(VALU_DEP_1) | instskip(NEXT) | instid1(VALU_DEP_1)
	v_fma_f64 v[38:39], v[42:43], v[34:35], v[38:39]
	v_fma_f64 v[40:41], -v[38:39], v[38:39], v[32:33]
	s_delay_alu instid0(VALU_DEP_1) | instskip(NEXT) | instid1(VALU_DEP_1)
	v_fma_f64 v[34:35], v[40:41], v[34:35], v[38:39]
	v_ldexp_f64 v[34:35], v[34:35], s0
	s_delay_alu instid0(VALU_DEP_1)
	v_dual_cndmask_b32 v33, v35, v33 :: v_dual_cndmask_b32 v32, v34, v32
	v_cmp_gt_f64_e32 vcc_lo, 0x10000000, v[36:37]
	v_mul_f64 v[34:35], s[8:9], v[30:31]
	s_mov_b32 vcc_hi, 0x3f93c924
	v_cndmask_b32_e64 v25, 0, 1, vcc_lo
	s_and_b32 s0, vcc_lo, exec_lo
	s_cselect_b32 s0, 0xffffff80, 0
	s_delay_alu instid0(VALU_DEP_1) | instskip(NEXT) | instid1(VALU_DEP_1)
	v_lshlrev_b32_e32 v25, 8, v25
	v_ldexp_f64 v[36:37], v[36:37], v25
	v_mov_b32_e32 v25, 0x3ff00000
	s_delay_alu instid0(VALU_DEP_2) | instskip(SKIP_4) | instid1(VALU_DEP_1)
	v_rsq_f64_e32 v[38:39], v[36:37]
	v_cmp_class_f64_e64 vcc_lo, v[36:37], 0x260
	s_waitcnt_depctr 0xfff
	v_mul_f64 v[40:41], v[36:37], v[38:39]
	v_mul_f64 v[38:39], v[38:39], 0.5
	v_fma_f64 v[42:43], -v[38:39], v[40:41], 0.5
	s_delay_alu instid0(VALU_DEP_1) | instskip(SKIP_1) | instid1(VALU_DEP_2)
	v_fma_f64 v[40:41], v[40:41], v[42:43], v[40:41]
	v_fma_f64 v[38:39], v[38:39], v[42:43], v[38:39]
	v_fma_f64 v[44:45], -v[40:41], v[40:41], v[36:37]
	s_delay_alu instid0(VALU_DEP_1) | instskip(NEXT) | instid1(VALU_DEP_1)
	v_fma_f64 v[40:41], v[44:45], v[38:39], v[40:41]
	v_fma_f64 v[42:43], -v[40:41], v[40:41], v[36:37]
	s_delay_alu instid0(VALU_DEP_1) | instskip(NEXT) | instid1(VALU_DEP_1)
	v_fma_f64 v[38:39], v[42:43], v[38:39], v[40:41]
	v_ldexp_f64 v[38:39], v[38:39], s0
	s_mov_b32 s0, 0x9b27acf1
	s_delay_alu instid0(SALU_CYCLE_1) | instskip(SKIP_2) | instid1(SALU_CYCLE_1)
	v_writelane_b32 v184, s0, 16
	v_writelane_b32 v184, s1, 17
	s_mov_b32 s0, 0x998ef7b6
	v_writelane_b32 v184, s0, 18
	v_writelane_b32 v184, s1, 19
	s_mov_b32 s0, 0x55555780
	s_delay_alu instid0(SALU_CYCLE_1)
	v_writelane_b32 v184, s0, 20
	v_writelane_b32 v184, s1, 21
	s_mov_b32 s1, 0x402921fb
	v_writelane_b32 v184, s0, 22
	v_dual_cndmask_b32 v37, v39, v37 :: v_dual_cndmask_b32 v36, v38, v36
	v_mov_b32_e32 v38, 0
	v_mov_b32_e32 v39, 0
	v_writelane_b32 v184, s1, 23
	s_mov_b32 s1, 0xbff71547
	s_delay_alu instid0(VALU_DEP_2)
	v_mov_b32_e32 v49, v39
	v_mov_b32_e32 v41, v39
	v_writelane_b32 v184, s0, 24
	v_mov_b32_e32 v48, v38
	v_mov_b32_e32 v40, v38
	v_writelane_b32 v184, s1, 25
	s_branch .LBB1_79
.LBB1_77:                               ;   in Loop: Header=BB1_79 Depth=1
	s_or_b32 exec_lo, exec_lo, s4
	v_mul_f64 v[90:91], v[48:49], v[48:49]
	v_mul_f64 v[98:99], v[50:51], 0.5
	s_mov_b32 s38, s60
	v_cmp_class_f64_e64 s4, v[4:5], 0x1f8
	s_mov_b32 s0, 0x652b82fe
	s_mov_b32 s1, 0x3ff71547
	;; [unrolled: 1-line block ×6, first 2 shown]
	s_mov_b64 s[2:3], s[40:41]
	s_mov_b32 s88, 0x7c89e6b0
	s_mov_b32 s89, 0x3efa0199
	;; [unrolled: 1-line block ×8, first 2 shown]
	v_mul_f64 v[44:45], 0x41506738, v[44:45]
	s_delay_alu instid0(VALU_DEP_4) | instskip(SKIP_1) | instid1(VALU_DEP_3)
	v_mul_f64 v[92:93], v[90:91], 0.5
	v_mul_f64 v[100:101], v[48:49], -v[90:91]
	v_mul_f64 v[44:45], 0x410208e0, v[44:45]
	s_delay_alu instid0(VALU_DEP_3) | instskip(NEXT) | instid1(VALU_DEP_1)
	v_add_f64 v[94:95], -v[92:93], 1.0
	v_add_f64 v[96:97], -v[94:95], 1.0
	s_delay_alu instid0(VALU_DEP_1) | instskip(SKIP_1) | instid1(VALU_DEP_2)
	v_add_f64 v[92:93], v[96:97], -v[92:93]
	v_fma_f64 v[96:97], v[90:91], s[28:29], s[26:27]
	v_fma_f64 v[92:93], v[48:49], -v[50:51], v[92:93]
	s_delay_alu instid0(VALU_DEP_2) | instskip(NEXT) | instid1(VALU_DEP_1)
	v_fma_f64 v[96:97], v[90:91], v[96:97], s[30:31]
	v_fma_f64 v[96:97], v[90:91], v[96:97], s[34:35]
	s_delay_alu instid0(VALU_DEP_1) | instskip(NEXT) | instid1(VALU_DEP_1)
	v_fma_f64 v[96:97], v[90:91], v[96:97], s[36:37]
	v_fma_f64 v[96:97], v[100:101], v[96:97], v[98:99]
	s_delay_alu instid0(VALU_DEP_1) | instskip(SKIP_1) | instid1(VALU_DEP_2)
	v_fma_f64 v[50:51], v[90:91], v[96:97], -v[50:51]
	v_fma_f64 v[96:97], v[90:91], s[16:17], s[14:15]
	v_fma_f64 v[50:51], v[100:101], s[38:39], v[50:51]
	s_delay_alu instid0(VALU_DEP_2) | instskip(NEXT) | instid1(VALU_DEP_2)
	v_fma_f64 v[96:97], v[90:91], v[96:97], s[18:19]
	v_add_f64 v[48:49], v[48:49], -v[50:51]
	s_delay_alu instid0(VALU_DEP_2) | instskip(NEXT) | instid1(VALU_DEP_1)
	v_fma_f64 v[96:97], v[90:91], v[96:97], s[20:21]
	v_fma_f64 v[96:97], v[90:91], v[96:97], s[22:23]
	s_delay_alu instid0(VALU_DEP_1) | instskip(SKIP_1) | instid1(VALU_DEP_1)
	v_fma_f64 v[96:97], v[90:91], v[96:97], s[60:61]
	v_mul_f64 v[90:91], v[90:91], v[90:91]
	v_fma_f64 v[90:91], v[90:91], v[96:97], v[92:93]
	s_delay_alu instid0(VALU_DEP_1) | instskip(SKIP_2) | instid1(VALU_DEP_2)
	v_add_f64 v[90:91], v[94:95], v[90:91]
	v_and_b32_e32 v27, 1, v86
	v_mul_f64 v[94:95], v[60:61], 0.5
	v_cmp_eq_u32_e32 vcc_lo, 0, v27
	s_delay_alu instid0(VALU_DEP_4) | instskip(SKIP_1) | instid1(VALU_DEP_1)
	v_dual_cndmask_b32 v98, v91, v49 :: v_dual_cndmask_b32 v27, v90, v48
	v_mul_f64 v[48:49], v[58:59], v[58:59]
	v_mul_f64 v[50:51], v[48:49], 0.5
	v_mul_f64 v[96:97], v[58:59], -v[48:49]
	s_delay_alu instid0(VALU_DEP_2) | instskip(NEXT) | instid1(VALU_DEP_1)
	v_add_f64 v[90:91], -v[50:51], 1.0
	v_add_f64 v[92:93], -v[90:91], 1.0
	s_delay_alu instid0(VALU_DEP_1) | instskip(SKIP_1) | instid1(VALU_DEP_2)
	v_add_f64 v[50:51], v[92:93], -v[50:51]
	v_fma_f64 v[92:93], v[48:49], s[28:29], s[26:27]
	v_fma_f64 v[50:51], v[58:59], -v[60:61], v[50:51]
	s_delay_alu instid0(VALU_DEP_2) | instskip(NEXT) | instid1(VALU_DEP_1)
	v_fma_f64 v[92:93], v[48:49], v[92:93], s[30:31]
	v_fma_f64 v[92:93], v[48:49], v[92:93], s[34:35]
	s_delay_alu instid0(VALU_DEP_1) | instskip(NEXT) | instid1(VALU_DEP_1)
	v_fma_f64 v[92:93], v[48:49], v[92:93], s[36:37]
	v_fma_f64 v[92:93], v[96:97], v[92:93], v[94:95]
	s_delay_alu instid0(VALU_DEP_1) | instskip(SKIP_1) | instid1(VALU_DEP_1)
	v_fma_f64 v[60:61], v[48:49], v[92:93], -v[60:61]
	v_fma_f64 v[92:93], v[48:49], s[16:17], s[14:15]
	v_fma_f64 v[92:93], v[48:49], v[92:93], s[18:19]
	s_delay_alu instid0(VALU_DEP_1) | instskip(NEXT) | instid1(VALU_DEP_1)
	v_fma_f64 v[92:93], v[48:49], v[92:93], s[20:21]
	v_fma_f64 v[92:93], v[48:49], v[92:93], s[22:23]
	s_delay_alu instid0(VALU_DEP_1) | instskip(SKIP_1) | instid1(VALU_DEP_1)
	v_fma_f64 v[92:93], v[48:49], v[92:93], s[60:61]
	v_mul_f64 v[48:49], v[48:49], v[48:49]
	v_fma_f64 v[48:49], v[48:49], v[92:93], v[50:51]
	v_fma_f64 v[50:51], v[96:97], s[38:39], v[60:61]
	s_delay_alu instid0(VALU_DEP_2) | instskip(NEXT) | instid1(VALU_DEP_2)
	v_add_f64 v[48:49], v[90:91], v[48:49]
	v_add_f64 v[50:51], v[58:59], -v[50:51]
	v_and_b32_e32 v58, 1, v87
	s_delay_alu instid0(VALU_DEP_1) | instskip(SKIP_1) | instid1(VALU_DEP_4)
	v_cmp_eq_u32_e32 vcc_lo, 0, v58
	v_add_f64 v[58:59], v[6:7], v[56:57]
	v_xor_b32_e32 v51, 0x80000000, v51
	v_cndmask_b32_e32 v60, v50, v48, vcc_lo
	s_delay_alu instid0(VALU_DEP_2) | instskip(SKIP_1) | instid1(VALU_DEP_2)
	v_dual_cndmask_b32 v61, v51, v49 :: v_dual_lshlrev_b32 v48, 30, v86
	v_mul_f64 v[50:51], v[6:7], v[62:63]
	v_xor_b32_e32 v48, v48, v5
	s_delay_alu instid0(VALU_DEP_1) | instskip(NEXT) | instid1(VALU_DEP_1)
	v_and_b32_e32 v48, 0x80000000, v48
	v_xor_b32_e32 v49, v98, v48
	v_cndmask_b32_e64 v48, 0, v27, s4
	v_lshlrev_b32_e32 v27, 30, v87
	s_delay_alu instid0(VALU_DEP_3) | instskip(NEXT) | instid1(VALU_DEP_2)
	v_cndmask_b32_e64 v49, 0x7ff80000, v49, s4
	v_and_b32_e32 v27, 0x80000000, v27
	s_delay_alu instid0(VALU_DEP_2) | instskip(NEXT) | instid1(VALU_DEP_2)
	v_mul_f64 v[48:49], v[48:49], v[48:49]
	v_xor_b32_e32 v27, v61, v27
	s_delay_alu instid0(VALU_DEP_2) | instskip(NEXT) | instid1(VALU_DEP_1)
	v_mul_f64 v[50:51], v[48:49], v[50:51]
	v_fma_f64 v[50:51], v[58:59], v[58:59], -v[50:51]
	v_cndmask_b32_e64 v58, 0, v60, s4
	s_delay_alu instid0(VALU_DEP_4) | instskip(SKIP_1) | instid1(VALU_DEP_2)
	v_cndmask_b32_e64 v59, 0x7ff80000, v27, s4
	v_and_b32_e32 v27, 1, v89
	v_mul_f64 v[58:59], v[58:59], v[58:59]
	v_mul_f64 v[50:51], v[48:49], v[50:51]
	s_delay_alu instid0(VALU_DEP_2) | instskip(NEXT) | instid1(VALU_DEP_1)
	v_fma_f64 v[56:57], v[6:7], v[58:59], v[56:57]
	v_div_scale_f64 v[58:59], null, v[56:57], v[56:57], v[50:51]
	s_delay_alu instid0(VALU_DEP_1) | instskip(SKIP_2) | instid1(VALU_DEP_1)
	v_rcp_f64_e32 v[60:61], v[58:59]
	s_waitcnt_depctr 0xfff
	v_fma_f64 v[86:87], -v[58:59], v[60:61], 1.0
	v_fma_f64 v[60:61], v[60:61], v[86:87], v[60:61]
	s_delay_alu instid0(VALU_DEP_1) | instskip(NEXT) | instid1(VALU_DEP_1)
	v_fma_f64 v[86:87], -v[58:59], v[60:61], 1.0
	v_fma_f64 v[60:61], v[60:61], v[86:87], v[60:61]
	v_div_scale_f64 v[86:87], vcc_lo, v[50:51], v[56:57], v[50:51]
	s_delay_alu instid0(VALU_DEP_1) | instskip(NEXT) | instid1(VALU_DEP_1)
	v_mul_f64 v[90:91], v[86:87], v[60:61]
	v_fma_f64 v[58:59], -v[58:59], v[90:91], v[86:87]
	s_delay_alu instid0(VALU_DEP_1) | instskip(SKIP_1) | instid1(VALU_DEP_2)
	v_div_fmas_f64 v[58:59], v[58:59], v[60:61], v[90:91]
	v_div_scale_f64 v[60:61], null, v[62:63], v[62:63], v[56:57]
	v_div_fixup_f64 v[50:51], v[58:59], v[56:57], v[50:51]
	s_delay_alu instid0(VALU_DEP_2) | instskip(SKIP_2) | instid1(VALU_DEP_1)
	v_rcp_f64_e32 v[86:87], v[60:61]
	s_waitcnt_depctr 0xfff
	v_fma_f64 v[90:91], -v[60:61], v[86:87], 1.0
	v_fma_f64 v[86:87], v[86:87], v[90:91], v[86:87]
	s_delay_alu instid0(VALU_DEP_1) | instskip(NEXT) | instid1(VALU_DEP_1)
	v_fma_f64 v[90:91], -v[60:61], v[86:87], 1.0
	v_fma_f64 v[86:87], v[86:87], v[90:91], v[86:87]
	v_div_scale_f64 v[90:91], vcc_lo, v[56:57], v[62:63], v[56:57]
	s_delay_alu instid0(VALU_DEP_1) | instskip(NEXT) | instid1(VALU_DEP_1)
	v_mul_f64 v[92:93], v[90:91], v[86:87]
	v_fma_f64 v[60:61], -v[60:61], v[92:93], v[90:91]
	s_delay_alu instid0(VALU_DEP_1) | instskip(SKIP_1) | instid1(VALU_DEP_2)
	v_div_fmas_f64 v[60:61], v[60:61], v[86:87], v[92:93]
	v_mul_f64 v[86:87], v[0:1], v[2:3]
	v_div_fixup_f64 v[58:59], v[60:61], v[62:63], v[56:57]
	s_delay_alu instid0(VALU_DEP_2) | instskip(NEXT) | instid1(VALU_DEP_1)
	v_mul_f64 v[86:87], v[86:87], v[48:49]
	v_div_scale_f64 v[48:49], null, v[56:57], v[56:57], v[86:87]
	s_delay_alu instid0(VALU_DEP_1) | instskip(SKIP_2) | instid1(VALU_DEP_1)
	v_rcp_f64_e32 v[90:91], v[48:49]
	s_waitcnt_depctr 0xfff
	v_fma_f64 v[92:93], -v[48:49], v[90:91], 1.0
	v_fma_f64 v[90:91], v[90:91], v[92:93], v[90:91]
	s_delay_alu instid0(VALU_DEP_1) | instskip(NEXT) | instid1(VALU_DEP_1)
	v_fma_f64 v[92:93], -v[48:49], v[90:91], 1.0
	v_fma_f64 v[90:91], v[90:91], v[92:93], v[90:91]
	v_div_scale_f64 v[92:93], vcc_lo, v[86:87], v[56:57], v[86:87]
	s_delay_alu instid0(VALU_DEP_1) | instskip(NEXT) | instid1(VALU_DEP_1)
	v_mul_f64 v[94:95], v[92:93], v[90:91]
	v_fma_f64 v[48:49], -v[48:49], v[94:95], v[92:93]
	s_delay_alu instid0(VALU_DEP_1) | instskip(SKIP_1) | instid1(VALU_DEP_1)
	v_div_fmas_f64 v[90:91], v[48:49], v[90:91], v[94:95]
	v_div_scale_f64 v[48:49], null, v[56:57], v[56:57], v[52:53]
	v_rcp_f64_e32 v[92:93], v[48:49]
	s_waitcnt_depctr 0xfff
	v_fma_f64 v[94:95], -v[48:49], v[92:93], 1.0
	s_delay_alu instid0(VALU_DEP_1) | instskip(NEXT) | instid1(VALU_DEP_1)
	v_fma_f64 v[92:93], v[92:93], v[94:95], v[92:93]
	v_fma_f64 v[94:95], -v[48:49], v[92:93], 1.0
	s_delay_alu instid0(VALU_DEP_1) | instskip(SKIP_1) | instid1(VALU_DEP_1)
	v_fma_f64 v[92:93], v[92:93], v[94:95], v[92:93]
	v_div_scale_f64 v[94:95], vcc_lo, v[52:53], v[56:57], v[52:53]
	v_mul_f64 v[96:97], v[94:95], v[92:93]
	s_delay_alu instid0(VALU_DEP_1) | instskip(NEXT) | instid1(VALU_DEP_1)
	v_fma_f64 v[48:49], -v[48:49], v[96:97], v[94:95]
	v_div_fmas_f64 v[92:93], v[48:49], v[92:93], v[96:97]
	v_div_scale_f64 v[48:49], null, v[64:65], v[64:65], v[74:75]
	s_delay_alu instid0(VALU_DEP_2) | instskip(NEXT) | instid1(VALU_DEP_2)
	v_div_fixup_f64 v[52:53], v[92:93], v[56:57], v[52:53]
	v_rcp_f64_e32 v[94:95], v[48:49]
	v_div_fixup_f64 v[56:57], v[90:91], v[56:57], v[86:87]
	s_delay_alu instid0(VALU_DEP_2) | instskip(SKIP_2) | instid1(VALU_DEP_1)
	v_add_f64 v[52:53], -v[52:53], 1.0
	s_waitcnt_depctr 0xfff
	v_fma_f64 v[96:97], -v[48:49], v[94:95], 1.0
	v_fma_f64 v[94:95], v[94:95], v[96:97], v[94:95]
	s_delay_alu instid0(VALU_DEP_1) | instskip(NEXT) | instid1(VALU_DEP_1)
	v_fma_f64 v[96:97], -v[48:49], v[94:95], 1.0
	v_fma_f64 v[94:95], v[94:95], v[96:97], v[94:95]
	v_div_scale_f64 v[96:97], vcc_lo, v[74:75], v[64:65], v[74:75]
	s_delay_alu instid0(VALU_DEP_1) | instskip(NEXT) | instid1(VALU_DEP_1)
	v_mul_f64 v[98:99], v[96:97], v[94:95]
	v_fma_f64 v[48:49], -v[48:49], v[98:99], v[96:97]
	s_delay_alu instid0(VALU_DEP_1) | instskip(NEXT) | instid1(VALU_DEP_1)
	v_div_fmas_f64 v[48:49], v[48:49], v[94:95], v[98:99]
	v_div_fixup_f64 v[48:49], v[48:49], v[64:65], v[74:75]
	v_mul_f64 v[74:75], v[82:83], 0.5
	s_delay_alu instid0(VALU_DEP_2) | instskip(NEXT) | instid1(VALU_DEP_1)
	v_mul_f64 v[60:61], v[48:49], v[48:49]
	v_fma_f64 v[50:51], v[50:51], v[60:61], -v[52:53]
	v_add_f64 v[52:53], v[48:49], v[48:49]
	s_delay_alu instid0(VALU_DEP_1) | instskip(SKIP_1) | instid1(VALU_DEP_1)
	v_fma_f64 v[50:51], -v[56:57], v[52:53], v[50:51]
	v_mul_f64 v[52:53], v[58:59], v[54:55]
	v_fma_f64 v[52:53], v[54:55], v[52:53], 1.0
	s_delay_alu instid0(VALU_DEP_1) | instskip(NEXT) | instid1(VALU_DEP_1)
	v_div_scale_f64 v[56:57], null, -v[50:51], -v[50:51], v[52:53]
	v_rcp_f64_e32 v[58:59], v[56:57]
	s_waitcnt_depctr 0xfff
	v_fma_f64 v[60:61], -v[56:57], v[58:59], 1.0
	s_delay_alu instid0(VALU_DEP_1) | instskip(NEXT) | instid1(VALU_DEP_1)
	v_fma_f64 v[58:59], v[58:59], v[60:61], v[58:59]
	v_fma_f64 v[60:61], -v[56:57], v[58:59], 1.0
	s_delay_alu instid0(VALU_DEP_1) | instskip(SKIP_1) | instid1(VALU_DEP_1)
	v_fma_f64 v[58:59], v[58:59], v[60:61], v[58:59]
	v_div_scale_f64 v[60:61], vcc_lo, v[52:53], -v[50:51], v[52:53]
	v_mul_f64 v[62:63], v[60:61], v[58:59]
	s_delay_alu instid0(VALU_DEP_1) | instskip(NEXT) | instid1(VALU_DEP_1)
	v_fma_f64 v[56:57], -v[56:57], v[62:63], v[60:61]
	v_div_fmas_f64 v[56:57], v[56:57], v[58:59], v[62:63]
	v_mul_f64 v[58:59], v[80:81], v[80:81]
	v_cmp_eq_u32_e32 vcc_lo, 0, v27
	s_delay_alu instid0(VALU_DEP_3) | instskip(NEXT) | instid1(VALU_DEP_3)
	v_div_fixup_f64 v[50:51], v[56:57], -v[50:51], v[52:53]
	v_mul_f64 v[60:61], v[58:59], 0.5
	v_mul_f64 v[86:87], v[80:81], -v[58:59]
	s_delay_alu instid0(VALU_DEP_2) | instskip(NEXT) | instid1(VALU_DEP_1)
	v_add_f64 v[62:63], -v[60:61], 1.0
	v_add_f64 v[64:65], -v[62:63], 1.0
	s_delay_alu instid0(VALU_DEP_1) | instskip(SKIP_1) | instid1(VALU_DEP_2)
	v_add_f64 v[60:61], v[64:65], -v[60:61]
	v_fma_f64 v[64:65], v[58:59], s[28:29], s[26:27]
	v_fma_f64 v[60:61], v[80:81], -v[82:83], v[60:61]
	s_delay_alu instid0(VALU_DEP_2) | instskip(NEXT) | instid1(VALU_DEP_1)
	v_fma_f64 v[64:65], v[58:59], v[64:65], s[30:31]
	v_fma_f64 v[64:65], v[58:59], v[64:65], s[34:35]
	s_delay_alu instid0(VALU_DEP_1) | instskip(NEXT) | instid1(VALU_DEP_1)
	v_fma_f64 v[64:65], v[58:59], v[64:65], s[36:37]
	v_fma_f64 v[64:65], v[86:87], v[64:65], v[74:75]
	;; [unrolled: 1-line block ×3, first 2 shown]
	s_delay_alu instid0(VALU_DEP_2) | instskip(NEXT) | instid1(VALU_DEP_2)
	v_fma_f64 v[64:65], v[58:59], v[64:65], -v[82:83]
	v_fma_f64 v[74:75], v[58:59], v[74:75], s[18:19]
	s_delay_alu instid0(VALU_DEP_1) | instskip(NEXT) | instid1(VALU_DEP_1)
	v_fma_f64 v[74:75], v[58:59], v[74:75], s[20:21]
	v_fma_f64 v[74:75], v[58:59], v[74:75], s[22:23]
	s_delay_alu instid0(VALU_DEP_1) | instskip(SKIP_1) | instid1(VALU_DEP_1)
	v_fma_f64 v[74:75], v[58:59], v[74:75], s[60:61]
	v_mul_f64 v[58:59], v[58:59], v[58:59]
	v_fma_f64 v[58:59], v[58:59], v[74:75], v[60:61]
	v_fma_f64 v[60:61], v[86:87], s[38:39], v[64:65]
	v_mul_f64 v[74:75], v[78:79], 0.5
	s_delay_alu instid0(VALU_DEP_3) | instskip(NEXT) | instid1(VALU_DEP_3)
	v_add_f64 v[58:59], v[62:63], v[58:59]
	v_add_f64 v[60:61], v[80:81], -v[60:61]
	s_delay_alu instid0(VALU_DEP_1) | instskip(SKIP_1) | instid1(VALU_DEP_1)
	v_dual_cndmask_b32 v27, v58, v60 :: v_dual_cndmask_b32 v82, v59, v61
	v_mul_f64 v[58:59], v[76:77], v[76:77]
	v_mul_f64 v[60:61], v[58:59], 0.5
	v_mul_f64 v[80:81], v[76:77], -v[58:59]
	s_delay_alu instid0(VALU_DEP_2) | instskip(NEXT) | instid1(VALU_DEP_1)
	v_add_f64 v[62:63], -v[60:61], 1.0
	v_add_f64 v[64:65], -v[62:63], 1.0
	s_delay_alu instid0(VALU_DEP_1) | instskip(SKIP_1) | instid1(VALU_DEP_2)
	v_add_f64 v[60:61], v[64:65], -v[60:61]
	v_fma_f64 v[64:65], v[58:59], s[28:29], s[26:27]
	v_fma_f64 v[60:61], v[76:77], -v[78:79], v[60:61]
	s_delay_alu instid0(VALU_DEP_2) | instskip(NEXT) | instid1(VALU_DEP_1)
	v_fma_f64 v[64:65], v[58:59], v[64:65], s[30:31]
	v_fma_f64 v[64:65], v[58:59], v[64:65], s[34:35]
	s_delay_alu instid0(VALU_DEP_1) | instskip(NEXT) | instid1(VALU_DEP_1)
	v_fma_f64 v[64:65], v[58:59], v[64:65], s[36:37]
	v_fma_f64 v[64:65], v[80:81], v[64:65], v[74:75]
	;; [unrolled: 1-line block ×3, first 2 shown]
	s_delay_alu instid0(VALU_DEP_2) | instskip(NEXT) | instid1(VALU_DEP_2)
	v_fma_f64 v[64:65], v[58:59], v[64:65], -v[78:79]
	v_fma_f64 v[74:75], v[58:59], v[74:75], s[18:19]
	s_delay_alu instid0(VALU_DEP_1) | instskip(NEXT) | instid1(VALU_DEP_1)
	v_fma_f64 v[74:75], v[58:59], v[74:75], s[20:21]
	v_fma_f64 v[74:75], v[58:59], v[74:75], s[22:23]
	s_delay_alu instid0(VALU_DEP_1) | instskip(SKIP_1) | instid1(VALU_DEP_1)
	v_fma_f64 v[74:75], v[58:59], v[74:75], s[60:61]
	v_mul_f64 v[58:59], v[58:59], v[58:59]
	v_fma_f64 v[58:59], v[58:59], v[74:75], v[60:61]
	v_fma_f64 v[60:61], v[80:81], s[38:39], v[64:65]
	s_delay_alu instid0(VALU_DEP_2) | instskip(NEXT) | instid1(VALU_DEP_2)
	v_add_f64 v[58:59], v[62:63], v[58:59]
	v_add_f64 v[60:61], v[76:77], -v[60:61]
	v_and_b32_e32 v62, 1, v88
	s_delay_alu instid0(VALU_DEP_1) | instskip(NEXT) | instid1(VALU_DEP_3)
	v_cmp_eq_u32_e32 vcc_lo, 0, v62
	v_xor_b32_e32 v61, 0x80000000, v61
	s_delay_alu instid0(VALU_DEP_4) | instskip(NEXT) | instid1(VALU_DEP_2)
	v_cndmask_b32_e32 v58, v60, v58, vcc_lo
	v_dual_cndmask_b32 v59, v61, v59 :: v_dual_lshlrev_b32 v60, 30, v88
	s_delay_alu instid0(VALU_DEP_2) | instskip(NEXT) | instid1(VALU_DEP_2)
	v_cndmask_b32_e64 v58, 0, v58, s4
	v_and_b32_e32 v60, 0x80000000, v60
	s_delay_alu instid0(VALU_DEP_1) | instskip(SKIP_1) | instid1(VALU_DEP_2)
	v_xor_b32_e32 v59, v59, v60
	v_lshlrev_b32_e32 v60, 30, v89
	v_cndmask_b32_e64 v59, 0x7ff80000, v59, s4
	s_delay_alu instid0(VALU_DEP_2) | instskip(NEXT) | instid1(VALU_DEP_2)
	v_xor_b32_e32 v60, v60, v5
	v_mul_f64 v[58:59], v[2:3], v[58:59]
	s_delay_alu instid0(VALU_DEP_2) | instskip(NEXT) | instid1(VALU_DEP_1)
	v_and_b32_e32 v60, 0x80000000, v60
	v_xor_b32_e32 v61, v82, v60
	v_cndmask_b32_e64 v60, 0, v27, s4
	s_delay_alu instid0(VALU_DEP_2) | instskip(SKIP_2) | instid1(VALU_DEP_1)
	v_cndmask_b32_e64 v61, 0x7ff80000, v61, s4
	s_mov_b32 s4, 0x6a5dcb37
	s_mov_b32 s5, 0x3e5ade15
	v_mul_f64 v[60:61], v[2:3], v[60:61]
	v_mul_f64 v[58:59], v[58:59], -v[58:59]
	s_delay_alu instid0(VALU_DEP_1) | instskip(NEXT) | instid1(VALU_DEP_1)
	v_mul_f64 v[58:59], v[58:59], 0.5
	v_div_scale_f64 v[62:63], null, v[60:61], v[60:61], v[58:59]
	s_delay_alu instid0(VALU_DEP_1) | instskip(SKIP_2) | instid1(VALU_DEP_1)
	v_rcp_f64_e32 v[64:65], v[62:63]
	s_waitcnt_depctr 0xfff
	v_fma_f64 v[74:75], -v[62:63], v[64:65], 1.0
	v_fma_f64 v[64:65], v[64:65], v[74:75], v[64:65]
	s_delay_alu instid0(VALU_DEP_1) | instskip(NEXT) | instid1(VALU_DEP_1)
	v_fma_f64 v[74:75], -v[62:63], v[64:65], 1.0
	v_fma_f64 v[64:65], v[64:65], v[74:75], v[64:65]
	v_div_scale_f64 v[74:75], vcc_lo, v[58:59], v[60:61], v[58:59]
	s_delay_alu instid0(VALU_DEP_1) | instskip(NEXT) | instid1(VALU_DEP_1)
	v_mul_f64 v[76:77], v[74:75], v[64:65]
	v_fma_f64 v[62:63], -v[62:63], v[76:77], v[74:75]
	s_delay_alu instid0(VALU_DEP_1) | instskip(NEXT) | instid1(VALU_DEP_1)
	v_div_fmas_f64 v[62:63], v[62:63], v[64:65], v[76:77]
	v_div_fixup_f64 v[58:59], v[62:63], v[60:61], v[58:59]
	s_delay_alu instid0(VALU_DEP_1) | instskip(NEXT) | instid1(VALU_DEP_1)
	v_div_scale_f64 v[62:63], null, v[60:61], v[60:61], v[58:59]
	v_rcp_f64_e32 v[64:65], v[62:63]
	s_waitcnt_depctr 0xfff
	v_fma_f64 v[74:75], -v[62:63], v[64:65], 1.0
	s_delay_alu instid0(VALU_DEP_1) | instskip(NEXT) | instid1(VALU_DEP_1)
	v_fma_f64 v[64:65], v[64:65], v[74:75], v[64:65]
	v_fma_f64 v[74:75], -v[62:63], v[64:65], 1.0
	s_delay_alu instid0(VALU_DEP_1) | instskip(SKIP_1) | instid1(VALU_DEP_1)
	v_fma_f64 v[64:65], v[64:65], v[74:75], v[64:65]
	v_div_scale_f64 v[74:75], vcc_lo, v[58:59], v[60:61], v[58:59]
	v_mul_f64 v[76:77], v[74:75], v[64:65]
	s_delay_alu instid0(VALU_DEP_1) | instskip(NEXT) | instid1(VALU_DEP_1)
	v_fma_f64 v[62:63], -v[62:63], v[76:77], v[74:75]
	v_div_fmas_f64 v[62:63], v[62:63], v[64:65], v[76:77]
	v_cndmask_b32_e64 v65, 0xbff19999, v25, s46
	v_cndmask_b32_e64 v64, 0x9999999a, 0, s46
	s_delay_alu instid0(VALU_DEP_1) | instskip(NEXT) | instid1(VALU_DEP_4)
	v_mul_f64 v[74:75], v[64:65], v[70:71]
	v_div_fixup_f64 v[58:59], v[62:63], v[60:61], v[58:59]
	s_delay_alu instid0(VALU_DEP_2) | instskip(SKIP_1) | instid1(VALU_DEP_2)
	v_fma_f64 v[70:71], v[64:65], v[70:71], -v[74:75]
	v_cmp_class_f64_e64 vcc_lo, v[74:75], 0x204
	v_fma_f64 v[70:71], v[64:65], v[72:73], v[70:71]
	s_delay_alu instid0(VALU_DEP_1) | instskip(NEXT) | instid1(VALU_DEP_1)
	v_add_f64 v[72:73], v[74:75], v[70:71]
	v_dual_cndmask_b32 v77, v73, v75 :: v_dual_cndmask_b32 v76, v72, v74
	v_add_f64 v[72:73], v[72:73], -v[74:75]
	s_delay_alu instid0(VALU_DEP_2) | instskip(NEXT) | instid1(VALU_DEP_2)
	v_cmp_neq_f64_e64 vcc_lo, 0x7ff00000, |v[76:77]|
	v_add_f64 v[70:71], v[70:71], -v[72:73]
	v_mul_f64 v[72:73], v[76:77], s[0:1]
	s_mov_b32 s0, 0xfefa39ef
	s_mov_b32 s1, 0x3fe62e42
	;; [unrolled: 1-line block ×4, first 2 shown]
	s_mov_b64 s[40:41], s[0:1]
	s_delay_alu instid0(SALU_CYCLE_1) | instskip(SKIP_1) | instid1(VALU_DEP_4)
	v_writelane_b32 v184, s40, 8
	v_writelane_b32 v184, s41, 9
	v_cndmask_b32_e32 v71, 0, v71, vcc_lo
	s_delay_alu instid0(VALU_DEP_4) | instskip(NEXT) | instid1(VALU_DEP_1)
	v_rndne_f64_e32 v[72:73], v[72:73]
	v_fma_f64 v[74:75], v[72:73], s[0:1], v[76:77]
	s_mov_b32 s0, 0xfca7ab0c
	s_mov_b32 s1, 0x3e928af3
	v_cvt_i32_f64_e32 v27, v[72:73]
	s_delay_alu instid0(VALU_DEP_2) | instskip(NEXT) | instid1(VALU_DEP_1)
	v_fma_f64 v[74:75], v[72:73], s[2:3], v[74:75]
	v_fma_f64 v[78:79], v[74:75], s[4:5], s[0:1]
	s_mov_b32 s0, 0x623fde64
	s_mov_b32 s1, 0x3ec71dee
	s_mov_b64 s[4:5], s[64:65]
	s_delay_alu instid0(SALU_CYCLE_1) | instskip(SKIP_1) | instid1(VALU_DEP_3)
	v_writelane_b32 v184, s4, 10
	v_writelane_b32 v184, s5, 11
	v_fma_f64 v[78:79], v[74:75], v[78:79], s[0:1]
	s_mov_b32 s0, 0x7c89e6b0
	s_mov_b32 s1, 0x3efa0199
	s_delay_alu instid0(VALU_DEP_1) | instid1(SALU_CYCLE_1)
	v_fma_f64 v[78:79], v[74:75], v[78:79], s[0:1]
	s_mov_b32 s0, 0x14761f6e
	s_mov_b32 s1, 0x3f2a01a0
	s_delay_alu instid0(VALU_DEP_1) | instid1(SALU_CYCLE_1)
	;; [unrolled: 4-line block ×3, first 2 shown]
	v_fma_f64 v[78:79], v[74:75], v[78:79], s[0:1]
	s_mov_b32 s0, 0x55555511
	s_mov_b32 s1, 0x3fc55555
	s_delay_alu instid0(VALU_DEP_1) | instskip(SKIP_2) | instid1(VALU_DEP_1)
	v_fma_f64 v[78:79], v[74:75], v[78:79], s[64:65]
	s_mov_b32 s64, 11
	s_mov_b32 s65, 0x3fe00000
	v_fma_f64 v[78:79], v[74:75], v[78:79], s[24:25]
	s_delay_alu instid0(VALU_DEP_1)
	v_fma_f64 v[78:79], v[74:75], v[78:79], s[0:1]
	s_mov_b32 s0, 11
	s_mov_b32 s1, 0x3fe00000
	s_delay_alu instid0(VALU_DEP_1) | instid1(SALU_CYCLE_1)
	v_fma_f64 v[78:79], v[74:75], v[78:79], s[0:1]
	s_delay_alu instid0(VALU_DEP_1) | instskip(NEXT) | instid1(VALU_DEP_1)
	v_fma_f64 v[78:79], v[74:75], v[78:79], 1.0
	v_fma_f64 v[74:75], v[74:75], v[78:79], 1.0
	s_delay_alu instid0(VALU_DEP_1) | instskip(SKIP_2) | instid1(VALU_DEP_3)
	v_ldexp_f64 v[72:73], v[74:75], v27
	v_cndmask_b32_e32 v70, 0, v70, vcc_lo
	v_cmp_lt_f64_e32 vcc_lo, 0x40900000, v[76:77]
	v_cndmask_b32_e64 v27, v73, 0x7ff00000, vcc_lo
	v_and_b32_e32 v73, 0x7fffffff, v73
	v_cndmask_b32_e64 v74, v72, 0, vcc_lo
	s_delay_alu instid0(VALU_DEP_2) | instskip(NEXT) | instid1(VALU_DEP_1)
	v_cmp_eq_f64_e64 s0, 0x7ff00000, v[72:73]
	s_or_b32 s0, vcc_lo, s0
	v_cmp_ngt_f64_e32 vcc_lo, 0xc090cc00, v[76:77]
	s_delay_alu instid0(VALU_DEP_3) | instskip(SKIP_3) | instid1(SALU_CYCLE_1)
	v_dual_cndmask_b32 v73, 0, v27 :: v_dual_cndmask_b32 v72, 0, v74
	s_and_b32 vcc_lo, vcc_lo, s0
	s_mov_b32 s0, 0x652b82fe
	s_mov_b32 s1, 0x3ff71547
	v_mul_f64 v[60:61], v[58:59], s[0:1]
	v_fma_f64 v[70:71], v[72:73], v[70:71], v[72:73]
	s_mov_b32 s0, 0x6a5dcb37
	s_mov_b32 s1, 0x3e5ade15
	s_delay_alu instid0(VALU_DEP_2) | instskip(NEXT) | instid1(VALU_DEP_2)
	v_rndne_f64_e32 v[60:61], v[60:61]
	v_dual_cndmask_b32 v27, v70, v72 :: v_dual_cndmask_b32 v72, v71, v73
	v_cmp_nlt_f64_e32 vcc_lo, 0x40900000, v[58:59]
	s_delay_alu instid0(VALU_DEP_3) | instskip(SKIP_1) | instid1(VALU_DEP_1)
	v_fma_f64 v[62:63], v[60:61], s[40:41], v[58:59]
	s_mov_b64 s[40:41], s[2:3]
	v_fma_f64 v[62:63], v[60:61], s[2:3], v[62:63]
	s_mov_b32 s2, 0xfca7ab0c
	s_mov_b32 s3, 0x3e928af3
	v_cvt_i32_f64_e32 v60, v[60:61]
	s_delay_alu instid0(VALU_DEP_2) | instskip(SKIP_4) | instid1(VALU_DEP_1)
	v_fma_f64 v[70:71], v[62:63], s[0:1], s[2:3]
	s_mov_b32 s0, 0x623fde64
	s_mov_b32 s1, 0x3ec71dee
	s_mov_b32 s2, 0xf3a00000
	s_mov_b32 s3, 0x421beb9b
	v_fma_f64 v[70:71], v[62:63], v[70:71], s[0:1]
	v_cmp_ngt_f64_e64 s0, 0xc090cc00, v[58:59]
	s_delay_alu instid0(VALU_DEP_2) | instskip(SKIP_1) | instid1(VALU_DEP_1)
	v_fma_f64 v[70:71], v[62:63], v[70:71], s[88:89]
	s_mov_b64 s[88:89], s[24:25]
	v_fma_f64 v[70:71], v[62:63], v[70:71], s[86:87]
	s_mov_b32 s86, 0x968915a9
	s_mov_b32 s87, 0x3fba6564
	s_delay_alu instid0(VALU_DEP_1) | instskip(NEXT) | instid1(VALU_DEP_1)
	v_fma_f64 v[70:71], v[62:63], v[70:71], s[72:73]
	v_fma_f64 v[70:71], v[62:63], v[70:71], s[4:5]
	s_mov_b32 s4, 0x48a2940
	s_mov_b32 s5, 0x3e0080f2
	s_delay_alu instid0(VALU_DEP_1) | instskip(SKIP_2) | instid1(VALU_DEP_1)
	v_fma_f64 v[70:71], v[62:63], v[70:71], s[24:25]
	s_mov_b32 s24, 0x53c8d4f1
	s_mov_b32 s25, 0x400921fb
	v_fma_f64 v[70:71], v[62:63], v[70:71], s[70:71]
	s_delay_alu instid0(VALU_DEP_1) | instskip(NEXT) | instid1(VALU_DEP_1)
	v_fma_f64 v[70:71], v[62:63], v[70:71], s[64:65]
	v_fma_f64 v[70:71], v[62:63], v[70:71], 1.0
	s_delay_alu instid0(VALU_DEP_1) | instskip(NEXT) | instid1(VALU_DEP_1)
	v_fma_f64 v[62:63], v[62:63], v[70:71], 1.0
	v_ldexp_f64 v[60:61], v[62:63], v60
	s_delay_alu instid0(VALU_DEP_1) | instskip(NEXT) | instid1(VALU_DEP_1)
	v_mul_f64 v[60:61], 0x417c9c38, v[60:61]
	v_cndmask_b32_e32 v61, 0x7ff00000, v61, vcc_lo
	s_and_b32 vcc_lo, s0, vcc_lo
	s_delay_alu instid0(VALU_DEP_2) | instskip(NEXT) | instid1(VALU_DEP_2)
	v_cndmask_b32_e32 v58, 0, v60, vcc_lo
	v_cndmask_b32_e64 v59, 0, v61, s0
	v_trunc_f64_e32 v[60:61], v[64:65]
	s_delay_alu instid0(VALU_DEP_1) | instskip(SKIP_2) | instid1(VALU_DEP_2)
	v_cmp_eq_f64_e32 vcc_lo, v[60:61], v[64:65]
	v_mul_f64 v[60:61], v[64:65], 0.5
	v_cndmask_b32_e32 v70, 0, v27, vcc_lo
	v_trunc_f64_e32 v[62:63], v[60:61]
	s_delay_alu instid0(VALU_DEP_2) | instskip(NEXT) | instid1(VALU_DEP_2)
	v_cndmask_b32_e64 v27, v27, v70, s66
	v_cmp_neq_f64_e64 s0, v[62:63], v[60:61]
	s_delay_alu instid0(VALU_DEP_1) | instskip(NEXT) | instid1(SALU_CYCLE_1)
	s_and_b32 s0, vcc_lo, s0
	v_cndmask_b32_e64 v60, 0x3ff00000, v3, s0
	v_cndmask_b32_e64 v62, 0, v3, s0
	s_delay_alu instid0(VALU_DEP_2) | instskip(NEXT) | instid1(VALU_DEP_1)
	v_bfi_b32 v60, 0x7fffffff, v72, v60
	v_cndmask_b32_e32 v61, 0x7ff80000, v60, vcc_lo
	v_cmp_gt_f64_e32 vcc_lo, 0, v[64:65]
	s_delay_alu instid0(VALU_DEP_2) | instskip(SKIP_1) | instid1(SALU_CYCLE_1)
	v_cndmask_b32_e64 v60, v60, v61, s66
	s_xor_b32 s1, s48, vcc_lo
	v_cndmask_b32_e64 v61, 0x7ff00000, 0, s1
	s_mov_b32 s0, 0x763a43f4
	s_mov_b32 s1, 0x40041b2f
	s_delay_alu instid0(VALU_DEP_1) | instskip(NEXT) | instid1(VALU_DEP_1)
	v_bfi_b32 v61, 0x7fffffff, v61, v62
	v_cndmask_b32_e64 v61, v60, v61, s68
	v_cndmask_b32_e64 v60, v27, 0, s68
	s_delay_alu instid0(VALU_DEP_1) | instskip(NEXT) | instid1(VALU_DEP_1)
	v_mul_f64 v[60:61], v[60:61], v[58:59]
	v_mul_f64 v[58:59], v[60:61], s[0:1]
	s_mov_b32 s0, 0xd69d246c
	s_mov_b32 s1, 0x3b002d36
	s_delay_alu instid0(VALU_DEP_1) | instid1(SALU_CYCLE_1)
	v_mul_f64 v[58:59], v[58:59], s[0:1]
	s_mov_b32 s0, 0xf3a00000
	s_mov_b32 s1, 0x421beb9b
	s_delay_alu instid0(VALU_DEP_1) | instid1(SALU_CYCLE_1)
	v_mul_f64 v[58:59], v[58:59], s[0:1]
	s_delay_alu instid0(VALU_DEP_1) | instskip(SKIP_2) | instid1(VALU_DEP_1)
	v_mul_f64 v[58:59], v[58:59], s[0:1]
	s_mov_b32 s0, 0x635807cb
	s_mov_b32 s1, 0x3a520b02
	v_div_scale_f64 v[62:63], null, 0x40180000, 0x40180000, v[58:59]
	s_delay_alu instid0(VALU_DEP_1) | instskip(SKIP_2) | instid1(VALU_DEP_1)
	v_rcp_f64_e32 v[64:65], v[62:63]
	s_waitcnt_depctr 0xfff
	v_fma_f64 v[70:71], -v[62:63], v[64:65], 1.0
	v_fma_f64 v[64:65], v[64:65], v[70:71], v[64:65]
	s_delay_alu instid0(VALU_DEP_1) | instskip(NEXT) | instid1(VALU_DEP_1)
	v_fma_f64 v[70:71], -v[62:63], v[64:65], 1.0
	v_fma_f64 v[64:65], v[64:65], v[70:71], v[64:65]
	v_div_scale_f64 v[70:71], vcc_lo, v[58:59], 0x40180000, v[58:59]
	s_delay_alu instid0(VALU_DEP_1) | instskip(NEXT) | instid1(VALU_DEP_1)
	v_mul_f64 v[72:73], v[70:71], v[64:65]
	v_fma_f64 v[62:63], -v[62:63], v[72:73], v[70:71]
	s_delay_alu instid0(VALU_DEP_1) | instskip(NEXT) | instid1(VALU_DEP_1)
	v_div_fmas_f64 v[62:63], v[62:63], v[64:65], v[72:73]
	v_div_fixup_f64 v[58:59], v[62:63], 0x40180000, v[58:59]
	s_delay_alu instid0(VALU_DEP_1) | instskip(NEXT) | instid1(VALU_DEP_1)
	v_div_scale_f64 v[62:63], null, v[2:3], v[2:3], v[58:59]
	v_rcp_f64_e32 v[64:65], v[62:63]
	s_waitcnt_depctr 0xfff
	v_fma_f64 v[70:71], -v[62:63], v[64:65], 1.0
	s_delay_alu instid0(VALU_DEP_1) | instskip(NEXT) | instid1(VALU_DEP_1)
	v_fma_f64 v[64:65], v[64:65], v[70:71], v[64:65]
	v_fma_f64 v[70:71], -v[62:63], v[64:65], 1.0
	s_delay_alu instid0(VALU_DEP_1) | instskip(SKIP_1) | instid1(VALU_DEP_1)
	v_fma_f64 v[64:65], v[64:65], v[70:71], v[64:65]
	v_div_scale_f64 v[70:71], vcc_lo, v[58:59], v[2:3], v[58:59]
	v_mul_f64 v[72:73], v[70:71], v[64:65]
	s_delay_alu instid0(VALU_DEP_1) | instskip(NEXT) | instid1(VALU_DEP_1)
	v_fma_f64 v[62:63], -v[62:63], v[72:73], v[70:71]
	v_div_fmas_f64 v[62:63], v[62:63], v[64:65], v[72:73]
	s_delay_alu instid0(VALU_DEP_1) | instskip(NEXT) | instid1(VALU_DEP_1)
	v_div_fixup_f64 v[58:59], v[62:63], v[2:3], v[58:59]
	v_cmp_gt_f64_e32 vcc_lo, 0x10000000, v[58:59]
	v_cndmask_b32_e64 v27, 0, 1, vcc_lo
	v_cndmask_b32_e64 v72, 0, 0xffffff80, vcc_lo
	s_delay_alu instid0(VALU_DEP_2) | instskip(NEXT) | instid1(VALU_DEP_1)
	v_lshlrev_b32_e32 v27, 8, v27
	v_ldexp_f64 v[58:59], v[58:59], v27
	s_delay_alu instid0(VALU_DEP_1) | instskip(SKIP_4) | instid1(VALU_DEP_1)
	v_rsq_f64_e32 v[62:63], v[58:59]
	v_cmp_class_f64_e64 vcc_lo, v[58:59], 0x260
	s_waitcnt_depctr 0xfff
	v_mul_f64 v[64:65], v[58:59], v[62:63]
	v_mul_f64 v[62:63], v[62:63], 0.5
	v_fma_f64 v[70:71], -v[62:63], v[64:65], 0.5
	s_delay_alu instid0(VALU_DEP_1) | instskip(SKIP_1) | instid1(VALU_DEP_2)
	v_fma_f64 v[64:65], v[64:65], v[70:71], v[64:65]
	v_fma_f64 v[62:63], v[62:63], v[70:71], v[62:63]
	v_fma_f64 v[70:71], -v[64:65], v[64:65], v[58:59]
	s_delay_alu instid0(VALU_DEP_1) | instskip(NEXT) | instid1(VALU_DEP_1)
	v_fma_f64 v[64:65], v[70:71], v[62:63], v[64:65]
	v_fma_f64 v[70:71], -v[64:65], v[64:65], v[58:59]
	s_delay_alu instid0(VALU_DEP_1) | instskip(NEXT) | instid1(VALU_DEP_1)
	v_fma_f64 v[62:63], v[70:71], v[62:63], v[64:65]
	v_ldexp_f64 v[62:63], v[62:63], v72
	s_delay_alu instid0(VALU_DEP_1) | instskip(NEXT) | instid1(VALU_DEP_1)
	v_dual_cndmask_b32 v59, v63, v59 :: v_dual_cndmask_b32 v58, v62, v58
	v_mul_f64 v[58:59], v[58:59], s[4:5]
	s_delay_alu instid0(VALU_DEP_1) | instskip(NEXT) | instid1(VALU_DEP_1)
	v_mul_f64 v[58:59], v[58:59], 0.5
	v_div_scale_f64 v[62:63], null, s[24:25], s[24:25], v[58:59]
	s_delay_alu instid0(VALU_DEP_1) | instskip(SKIP_2) | instid1(VALU_DEP_1)
	v_rcp_f64_e32 v[64:65], v[62:63]
	s_waitcnt_depctr 0xfff
	v_fma_f64 v[70:71], -v[62:63], v[64:65], 1.0
	v_fma_f64 v[64:65], v[64:65], v[70:71], v[64:65]
	s_delay_alu instid0(VALU_DEP_1) | instskip(NEXT) | instid1(VALU_DEP_1)
	v_fma_f64 v[70:71], -v[62:63], v[64:65], 1.0
	v_fma_f64 v[64:65], v[64:65], v[70:71], v[64:65]
	v_div_scale_f64 v[70:71], vcc_lo, v[58:59], s[24:25], v[58:59]
	s_delay_alu instid0(VALU_DEP_1) | instskip(NEXT) | instid1(VALU_DEP_1)
	v_mul_f64 v[72:73], v[70:71], v[64:65]
	v_fma_f64 v[62:63], -v[62:63], v[72:73], v[70:71]
	s_delay_alu instid0(VALU_DEP_1) | instskip(NEXT) | instid1(VALU_DEP_1)
	v_div_fmas_f64 v[62:63], v[62:63], v[64:65], v[72:73]
	v_div_fixup_f64 v[58:59], v[62:63], s[24:25], v[58:59]
	s_delay_alu instid0(VALU_DEP_1) | instskip(NEXT) | instid1(VALU_DEP_1)
	v_div_scale_f64 v[62:63], null, s[0:1], s[0:1], v[58:59]
	v_rcp_f64_e32 v[64:65], v[62:63]
	s_waitcnt_depctr 0xfff
	v_fma_f64 v[70:71], -v[62:63], v[64:65], 1.0
	s_delay_alu instid0(VALU_DEP_1) | instskip(NEXT) | instid1(VALU_DEP_1)
	v_fma_f64 v[64:65], v[64:65], v[70:71], v[64:65]
	v_fma_f64 v[70:71], -v[62:63], v[64:65], 1.0
	s_delay_alu instid0(VALU_DEP_1) | instskip(SKIP_1) | instid1(VALU_DEP_1)
	v_fma_f64 v[64:65], v[64:65], v[70:71], v[64:65]
	v_div_scale_f64 v[70:71], vcc_lo, v[58:59], s[0:1], v[58:59]
	v_mul_f64 v[72:73], v[70:71], v[64:65]
	s_delay_alu instid0(VALU_DEP_1) | instskip(NEXT) | instid1(VALU_DEP_1)
	v_fma_f64 v[62:63], -v[62:63], v[72:73], v[70:71]
	v_div_fmas_f64 v[62:63], v[62:63], v[64:65], v[72:73]
	v_cmp_gt_f64_e32 vcc_lo, 0x10000000, v[50:51]
	v_cndmask_b32_e64 v27, 0, 1, vcc_lo
	v_cndmask_b32_e64 v70, 0, 0xffffff80, vcc_lo
	s_delay_alu instid0(VALU_DEP_2) | instskip(NEXT) | instid1(VALU_DEP_1)
	v_lshlrev_b32_e32 v27, 8, v27
	v_ldexp_f64 v[50:51], v[50:51], v27
	s_delay_alu instid0(VALU_DEP_1) | instskip(SKIP_4) | instid1(VALU_DEP_1)
	v_rsq_f64_e32 v[52:53], v[50:51]
	v_cmp_class_f64_e64 vcc_lo, v[50:51], 0x260
	s_waitcnt_depctr 0xfff
	v_mul_f64 v[56:57], v[50:51], v[52:53]
	v_mul_f64 v[52:53], v[52:53], 0.5
	v_fma_f64 v[64:65], -v[52:53], v[56:57], 0.5
	s_delay_alu instid0(VALU_DEP_1) | instskip(SKIP_1) | instid1(VALU_DEP_2)
	v_fma_f64 v[56:57], v[56:57], v[64:65], v[56:57]
	v_fma_f64 v[52:53], v[52:53], v[64:65], v[52:53]
	v_fma_f64 v[64:65], -v[56:57], v[56:57], v[50:51]
	s_delay_alu instid0(VALU_DEP_1) | instskip(NEXT) | instid1(VALU_DEP_1)
	v_fma_f64 v[56:57], v[64:65], v[52:53], v[56:57]
	v_fma_f64 v[64:65], -v[56:57], v[56:57], v[50:51]
	s_delay_alu instid0(VALU_DEP_1) | instskip(NEXT) | instid1(VALU_DEP_1)
	v_fma_f64 v[52:53], v[64:65], v[52:53], v[56:57]
	v_ldexp_f64 v[52:53], v[52:53], v70
	s_delay_alu instid0(VALU_DEP_1) | instskip(SKIP_3) | instid1(VALU_DEP_4)
	v_dual_cndmask_b32 v51, v53, v51 :: v_dual_cndmask_b32 v50, v52, v50
	v_div_fixup_f64 v[52:53], v[62:63], s[0:1], v[58:59]
	v_readlane_b32 s0, v184, 2
	v_readlane_b32 s1, v184, 3
	v_mul_f64 v[48:49], v[48:49], v[50:51]
	s_delay_alu instid0(VALU_DEP_4) | instskip(NEXT) | instid1(VALU_DEP_2)
	v_div_scale_f64 v[56:57], null, s[2:3], s[2:3], v[52:53]
	v_fma_f64 v[48:49], v[18:19], v[48:49], -v[50:51]
	s_delay_alu instid0(VALU_DEP_2) | instskip(NEXT) | instid1(VALU_DEP_1)
	v_rcp_f64_e32 v[58:59], v[56:57]
	v_fma_f64 v[48:49], v[14:15], v[54:55], v[48:49]
	s_waitcnt_depctr 0xfff
	v_fma_f64 v[62:63], -v[56:57], v[58:59], 1.0
	v_mul_f64 v[50:51], s[0:1], -v[48:49]
	v_readlane_b32 s0, v184, 22
	v_readlane_b32 s1, v184, 23
	s_delay_alu instid0(VALU_DEP_1) | instskip(NEXT) | instid1(VALU_DEP_2)
	s_mov_b32 s25, s1
	v_writelane_b32 v184, s0, 22
	v_writelane_b32 v184, s1, 23
	s_mov_b32 s0, 0xe8584caa
	s_mov_b32 s1, 0x3ffbb67a
	v_fma_f64 v[58:59], v[58:59], v[62:63], v[58:59]
	s_delay_alu instid0(VALU_DEP_1) | instskip(NEXT) | instid1(VALU_DEP_1)
	v_fma_f64 v[62:63], -v[56:57], v[58:59], 1.0
	v_fma_f64 v[58:59], v[58:59], v[62:63], v[58:59]
	v_div_scale_f64 v[62:63], vcc_lo, v[52:53], s[2:3], v[52:53]
	s_delay_alu instid0(VALU_DEP_1) | instskip(NEXT) | instid1(VALU_DEP_1)
	v_mul_f64 v[64:65], v[62:63], v[58:59]
	v_fma_f64 v[56:57], -v[56:57], v[64:65], v[62:63]
	s_delay_alu instid0(VALU_DEP_1) | instskip(SKIP_1) | instid1(VALU_DEP_2)
	v_div_fmas_f64 v[56:57], v[56:57], v[58:59], v[64:65]
	v_add_f64 v[58:59], v[50:51], v[50:51]
	v_div_fixup_f64 v[52:53], v[56:57], s[2:3], v[52:53]
	s_delay_alu instid0(VALU_DEP_2) | instskip(NEXT) | instid1(VALU_DEP_1)
	v_div_scale_f64 v[54:55], null, 0x40080000, 0x40080000, v[58:59]
	v_rcp_f64_e32 v[62:63], v[54:55]
	s_waitcnt_depctr 0xfff
	v_fma_f64 v[64:65], -v[54:55], v[62:63], 1.0
	s_delay_alu instid0(VALU_DEP_1) | instskip(NEXT) | instid1(VALU_DEP_1)
	v_fma_f64 v[62:63], v[62:63], v[64:65], v[62:63]
	v_fma_f64 v[64:65], -v[54:55], v[62:63], 1.0
	s_delay_alu instid0(VALU_DEP_1) | instskip(SKIP_1) | instid1(VALU_DEP_1)
	v_fma_f64 v[62:63], v[62:63], v[64:65], v[62:63]
	v_div_scale_f64 v[64:65], vcc_lo, v[58:59], 0x40080000, v[58:59]
	v_mul_f64 v[70:71], v[64:65], v[62:63]
	s_delay_alu instid0(VALU_DEP_1) | instskip(NEXT) | instid1(VALU_DEP_1)
	v_fma_f64 v[54:55], -v[54:55], v[70:71], v[64:65]
	v_div_fmas_f64 v[54:55], v[54:55], v[62:63], v[70:71]
	s_delay_alu instid0(VALU_DEP_1) | instskip(SKIP_1) | instid1(VALU_DEP_2)
	v_div_fixup_f64 v[54:55], v[54:55], 0x40080000, v[58:59]
	v_mul_f64 v[58:59], v[50:51], v[58:59]
	v_div_scale_f64 v[56:57], null, v[52:53], v[52:53], v[54:55]
	s_delay_alu instid0(VALU_DEP_2) | instskip(NEXT) | instid1(VALU_DEP_2)
	v_mul_f64 v[58:59], v[50:51], v[58:59]
	v_rcp_f64_e32 v[62:63], v[56:57]
	s_waitcnt_depctr 0xfff
	v_fma_f64 v[64:65], -v[56:57], v[62:63], 1.0
	s_delay_alu instid0(VALU_DEP_1) | instskip(NEXT) | instid1(VALU_DEP_1)
	v_fma_f64 v[62:63], v[62:63], v[64:65], v[62:63]
	v_fma_f64 v[64:65], -v[56:57], v[62:63], 1.0
	s_delay_alu instid0(VALU_DEP_1) | instskip(SKIP_1) | instid1(VALU_DEP_1)
	v_fma_f64 v[62:63], v[62:63], v[64:65], v[62:63]
	v_div_scale_f64 v[64:65], vcc_lo, v[54:55], v[52:53], v[54:55]
	v_mul_f64 v[70:71], v[64:65], v[62:63]
	s_delay_alu instid0(VALU_DEP_1) | instskip(NEXT) | instid1(VALU_DEP_1)
	v_fma_f64 v[56:57], -v[56:57], v[70:71], v[64:65]
	v_div_fmas_f64 v[56:57], v[56:57], v[62:63], v[70:71]
	s_delay_alu instid0(VALU_DEP_1) | instskip(NEXT) | instid1(VALU_DEP_1)
	v_div_fixup_f64 v[52:53], v[56:57], v[52:53], v[54:55]
	v_div_scale_f64 v[54:55], null, v[68:69], v[68:69], v[52:53]
	s_delay_alu instid0(VALU_DEP_1) | instskip(SKIP_2) | instid1(VALU_DEP_1)
	v_rcp_f64_e32 v[56:57], v[54:55]
	s_waitcnt_depctr 0xfff
	v_fma_f64 v[62:63], -v[54:55], v[56:57], 1.0
	v_fma_f64 v[56:57], v[56:57], v[62:63], v[56:57]
	s_delay_alu instid0(VALU_DEP_1) | instskip(NEXT) | instid1(VALU_DEP_1)
	v_fma_f64 v[62:63], -v[54:55], v[56:57], 1.0
	v_fma_f64 v[56:57], v[56:57], v[62:63], v[56:57]
	v_div_scale_f64 v[62:63], vcc_lo, v[52:53], v[68:69], v[52:53]
	s_delay_alu instid0(VALU_DEP_1) | instskip(NEXT) | instid1(VALU_DEP_1)
	v_mul_f64 v[64:65], v[62:63], v[56:57]
	v_fma_f64 v[54:55], -v[54:55], v[64:65], v[62:63]
	s_delay_alu instid0(VALU_DEP_1) | instskip(NEXT) | instid1(VALU_DEP_1)
	v_div_fmas_f64 v[54:55], v[54:55], v[56:57], v[64:65]
	v_div_fixup_f64 v[56:57], v[54:55], v[68:69], v[52:53]
	s_delay_alu instid0(VALU_DEP_1) | instskip(NEXT) | instid1(VALU_DEP_1)
	v_div_scale_f64 v[52:53], null, v[68:69], v[68:69], v[56:57]
	v_rcp_f64_e32 v[54:55], v[52:53]
	s_waitcnt_depctr 0xfff
	v_fma_f64 v[62:63], -v[52:53], v[54:55], 1.0
	s_delay_alu instid0(VALU_DEP_1) | instskip(NEXT) | instid1(VALU_DEP_1)
	v_fma_f64 v[54:55], v[54:55], v[62:63], v[54:55]
	v_fma_f64 v[62:63], -v[52:53], v[54:55], 1.0
	s_delay_alu instid0(VALU_DEP_1) | instskip(SKIP_1) | instid1(VALU_DEP_1)
	v_fma_f64 v[54:55], v[54:55], v[62:63], v[54:55]
	v_div_scale_f64 v[62:63], vcc_lo, v[56:57], v[68:69], v[56:57]
	v_mul_f64 v[64:65], v[62:63], v[54:55]
	s_delay_alu instid0(VALU_DEP_1) | instskip(NEXT) | instid1(VALU_DEP_1)
	v_fma_f64 v[52:53], -v[52:53], v[64:65], v[62:63]
	v_div_fmas_f64 v[62:63], v[52:53], v[54:55], v[64:65]
	v_mul_f64 v[52:53], v[60:61], s[24:25]
	v_readlane_b32 s24, v184, 14
	v_readlane_b32 s25, v184, 15
	s_mov_b32 s24, s60
	s_delay_alu instid0(VALU_DEP_4) | instskip(NEXT) | instid1(VALU_DEP_4)
	v_div_fixup_f64 v[56:57], v[62:63], v[68:69], v[56:57]
	v_mul_f64 v[52:53], v[52:53], s[4:5]
	s_delay_alu instid0(VALU_DEP_2) | instskip(NEXT) | instid1(VALU_DEP_2)
	v_frexp_exp_i32_f64_e32 v62, v[56:57]
	v_mul_f64 v[52:53], v[52:53], s[4:5]
	v_cmp_eq_f64_e64 s38, 1.0, v[56:57]
	s_mov_b64 s[4:5], s[40:41]
	s_mov_b32 s40, 0x6a5dcb37
	s_mov_b32 s41, 0x3e5ade15
	v_cmp_gt_f64_e64 s44, 0, v[56:57]
	s_delay_alu instid0(VALU_DEP_3) | instskip(NEXT) | instid1(VALU_DEP_1)
	v_mul_f64 v[52:53], v[50:51], v[52:53]
	v_div_scale_f64 v[54:55], null, s[0:1], s[0:1], v[52:53]
	s_delay_alu instid0(VALU_DEP_1) | instskip(SKIP_2) | instid1(VALU_DEP_1)
	v_rcp_f64_e32 v[60:61], v[54:55]
	s_waitcnt_depctr 0xfff
	v_fma_f64 v[64:65], -v[54:55], v[60:61], 1.0
	v_fma_f64 v[60:61], v[60:61], v[64:65], v[60:61]
	s_delay_alu instid0(VALU_DEP_1) | instskip(NEXT) | instid1(VALU_DEP_1)
	v_fma_f64 v[64:65], -v[54:55], v[60:61], 1.0
	v_fma_f64 v[60:61], v[60:61], v[64:65], v[60:61]
	v_div_scale_f64 v[64:65], vcc_lo, v[52:53], s[0:1], v[52:53]
	s_delay_alu instid0(VALU_DEP_1) | instskip(NEXT) | instid1(VALU_DEP_1)
	v_mul_f64 v[70:71], v[64:65], v[60:61]
	v_fma_f64 v[54:55], -v[54:55], v[70:71], v[64:65]
	s_delay_alu instid0(VALU_DEP_1) | instskip(NEXT) | instid1(VALU_DEP_1)
	v_div_fmas_f64 v[54:55], v[54:55], v[60:61], v[70:71]
	v_div_fixup_f64 v[52:53], v[54:55], s[0:1], v[52:53]
	s_mov_b32 s0, 0x4222de17
	s_mov_b32 s1, 0x3fbdee67
	s_delay_alu instid0(VALU_DEP_1) | instskip(NEXT) | instid1(VALU_DEP_1)
	v_div_scale_f64 v[54:55], null, v[84:85], v[84:85], v[52:53]
	v_rcp_f64_e32 v[60:61], v[54:55]
	s_waitcnt_depctr 0xfff
	v_fma_f64 v[64:65], -v[54:55], v[60:61], 1.0
	s_delay_alu instid0(VALU_DEP_1) | instskip(NEXT) | instid1(VALU_DEP_1)
	v_fma_f64 v[60:61], v[60:61], v[64:65], v[60:61]
	v_fma_f64 v[64:65], -v[54:55], v[60:61], 1.0
	s_delay_alu instid0(VALU_DEP_1) | instskip(SKIP_1) | instid1(VALU_DEP_1)
	v_fma_f64 v[60:61], v[60:61], v[64:65], v[60:61]
	v_div_scale_f64 v[64:65], vcc_lo, v[52:53], v[84:85], v[52:53]
	v_mul_f64 v[70:71], v[64:65], v[60:61]
	s_delay_alu instid0(VALU_DEP_1) | instskip(NEXT) | instid1(VALU_DEP_1)
	v_fma_f64 v[54:55], -v[54:55], v[70:71], v[64:65]
	v_div_fmas_f64 v[54:55], v[54:55], v[60:61], v[70:71]
	s_delay_alu instid0(VALU_DEP_1) | instskip(NEXT) | instid1(VALU_DEP_1)
	v_div_fixup_f64 v[52:53], v[54:55], v[84:85], v[52:53]
	v_div_scale_f64 v[54:55], null, s[2:3], s[2:3], v[52:53]
	s_delay_alu instid0(VALU_DEP_1) | instskip(SKIP_2) | instid1(VALU_DEP_1)
	v_rcp_f64_e32 v[60:61], v[54:55]
	s_waitcnt_depctr 0xfff
	v_fma_f64 v[64:65], -v[54:55], v[60:61], 1.0
	v_fma_f64 v[60:61], v[60:61], v[64:65], v[60:61]
	s_delay_alu instid0(VALU_DEP_1) | instskip(NEXT) | instid1(VALU_DEP_1)
	v_fma_f64 v[64:65], -v[54:55], v[60:61], 1.0
	v_fma_f64 v[60:61], v[60:61], v[64:65], v[60:61]
	v_div_scale_f64 v[64:65], vcc_lo, v[52:53], s[2:3], v[52:53]
	v_cmp_class_f64_e64 s2, v[56:57], 0x204
	s_delay_alu instid0(VALU_DEP_2) | instskip(NEXT) | instid1(VALU_DEP_1)
	v_mul_f64 v[70:71], v[64:65], v[60:61]
	v_fma_f64 v[54:55], -v[54:55], v[70:71], v[64:65]
	s_delay_alu instid0(VALU_DEP_1) | instskip(SKIP_1) | instid1(VALU_DEP_1)
	v_div_fmas_f64 v[54:55], v[54:55], v[60:61], v[70:71]
	v_frexp_mant_f64_e64 v[60:61], |v[56:57]|
	v_cmp_gt_f64_e32 vcc_lo, s[24:25], v[60:61]
	v_cndmask_b32_e64 v27, 0x3ff00000, 2.0, vcc_lo
	v_subrev_co_ci_u32_e32 v80, vcc_lo, 0, v62, vcc_lo
	s_delay_alu instid0(VALU_DEP_2) | instskip(NEXT) | instid1(VALU_DEP_1)
	v_mul_f64 v[60:61], v[60:61], v[26:27]
	v_add_f64 v[62:63], v[60:61], 1.0
	s_delay_alu instid0(VALU_DEP_1) | instskip(SKIP_2) | instid1(VALU_DEP_1)
	v_rcp_f64_e32 v[64:65], v[62:63]
	s_waitcnt_depctr 0xfff
	v_fma_f64 v[68:69], -v[62:63], v[64:65], 1.0
	v_fma_f64 v[64:65], v[68:69], v[64:65], v[64:65]
	s_delay_alu instid0(VALU_DEP_1) | instskip(NEXT) | instid1(VALU_DEP_1)
	v_fma_f64 v[68:69], -v[62:63], v[64:65], 1.0
	v_fma_f64 v[64:65], v[68:69], v[64:65], v[64:65]
	v_add_f64 v[68:69], v[62:63], -1.0
	s_delay_alu instid0(VALU_DEP_1) | instskip(SKIP_1) | instid1(VALU_DEP_1)
	v_add_f64 v[68:69], v[60:61], -v[68:69]
	v_add_f64 v[60:61], v[60:61], -1.0
	v_mul_f64 v[70:71], v[60:61], v[64:65]
	s_delay_alu instid0(VALU_DEP_1) | instskip(NEXT) | instid1(VALU_DEP_1)
	v_mul_f64 v[72:73], v[62:63], v[70:71]
	v_fma_f64 v[62:63], v[70:71], v[62:63], -v[72:73]
	s_delay_alu instid0(VALU_DEP_1) | instskip(NEXT) | instid1(VALU_DEP_1)
	v_fma_f64 v[62:63], v[70:71], v[68:69], v[62:63]
	v_add_f64 v[68:69], v[72:73], v[62:63]
	s_delay_alu instid0(VALU_DEP_1) | instskip(NEXT) | instid1(VALU_DEP_1)
	v_add_f64 v[72:73], v[68:69], -v[72:73]
	v_add_f64 v[62:63], v[72:73], -v[62:63]
	;; [unrolled: 1-line block ×3, first 2 shown]
	s_delay_alu instid0(VALU_DEP_1) | instskip(NEXT) | instid1(VALU_DEP_1)
	v_add_f64 v[60:61], v[60:61], -v[72:73]
	v_add_f64 v[60:61], v[60:61], -v[68:69]
	s_delay_alu instid0(VALU_DEP_1) | instskip(NEXT) | instid1(VALU_DEP_1)
	v_add_f64 v[60:61], v[62:63], v[60:61]
	v_add_f64 v[60:61], v[72:73], v[60:61]
	s_delay_alu instid0(VALU_DEP_1) | instskip(NEXT) | instid1(VALU_DEP_1)
	v_mul_f64 v[60:61], v[64:65], v[60:61]
	v_add_f64 v[62:63], v[70:71], v[60:61]
	s_delay_alu instid0(VALU_DEP_1) | instskip(NEXT) | instid1(VALU_DEP_1)
	v_add_f64 v[64:65], v[62:63], -v[70:71]
	v_add_f64 v[60:61], v[60:61], -v[64:65]
	v_mul_f64 v[64:65], v[62:63], v[62:63]
	s_delay_alu instid0(VALU_DEP_2) | instskip(NEXT) | instid1(VALU_DEP_2)
	v_add_f64 v[70:71], v[60:61], v[60:61]
	v_fma_f64 v[68:69], v[62:63], v[62:63], -v[64:65]
	s_delay_alu instid0(VALU_DEP_1) | instskip(NEXT) | instid1(VALU_DEP_1)
	v_fma_f64 v[68:69], v[62:63], v[70:71], v[68:69]
	v_add_f64 v[70:71], v[64:65], v[68:69]
	s_delay_alu instid0(VALU_DEP_1) | instskip(NEXT) | instid1(VALU_DEP_1)
	v_add_f64 v[64:65], v[70:71], -v[64:65]
	v_add_f64 v[64:65], v[68:69], -v[64:65]
	v_fma_f64 v[68:69], v[70:71], s[0:1], s[86:87]
	s_mov_b32 s0, 0x3abe935a
	s_mov_b32 s1, 0x3fbe25e4
	;; [unrolled: 1-line block ×4, first 2 shown]
	s_delay_alu instid0(VALU_DEP_1)
	v_fma_f64 v[68:69], v[70:71], v[68:69], s[0:1]
	s_mov_b32 s0, 0x47e6c9c2
	s_mov_b32 s1, 0x3fc110ef
	s_delay_alu instid0(VALU_DEP_1) | instid1(SALU_CYCLE_1)
	v_fma_f64 v[68:69], v[70:71], v[68:69], s[0:1]
	s_mov_b32 s0, 0xcfa74449
	s_mov_b32 s1, 0x3fc3b13b
	s_delay_alu instid0(VALU_DEP_1) | instid1(SALU_CYCLE_1)
	;; [unrolled: 4-line block ×6, first 2 shown]
	v_fma_f64 v[68:69], v[70:71], v[68:69], s[0:1]
	s_mov_b32 s1, s101
	s_mov_b32 s0, s60
	;; [unrolled: 1-line block ×3, first 2 shown]
	v_writelane_b32 v184, s100, 14
	v_writelane_b32 v184, s101, 15
	s_mov_b32 s101, s1
	v_writelane_b32 v184, s100, 6
	v_writelane_b32 v184, s101, 7
	s_delay_alu instid0(VALU_DEP_1) | instskip(SKIP_4) | instid1(VALU_DEP_1)
	v_readlane_b32 s72, v184, 8
	v_readlane_b32 s73, v184, 9
	;; [unrolled: 1-line block ×4, first 2 shown]
	v_mul_f64 v[72:73], v[70:71], v[68:69]
	v_fma_f64 v[74:75], v[70:71], v[68:69], -v[72:73]
	s_delay_alu instid0(VALU_DEP_1) | instskip(SKIP_1) | instid1(VALU_DEP_1)
	v_fma_f64 v[68:69], v[64:65], v[68:69], v[74:75]
	v_mul_f64 v[74:75], v[62:63], v[70:71]
	v_fma_f64 v[76:77], v[70:71], v[62:63], -v[74:75]
	s_delay_alu instid0(VALU_DEP_1) | instskip(NEXT) | instid1(VALU_DEP_4)
	v_fma_f64 v[70:71], v[70:71], v[60:61], v[76:77]
	v_add_f64 v[76:77], v[72:73], v[68:69]
	v_ldexp_f64 v[60:61], v[60:61], 1
	s_delay_alu instid0(VALU_DEP_3) | instskip(NEXT) | instid1(VALU_DEP_3)
	v_fma_f64 v[64:65], v[64:65], v[62:63], v[70:71]
	v_add_f64 v[72:73], v[76:77], -v[72:73]
	v_ldexp_f64 v[62:63], v[62:63], 1
	s_delay_alu instid0(VALU_DEP_2) | instskip(SKIP_3) | instid1(VALU_DEP_1)
	v_add_f64 v[68:69], v[68:69], -v[72:73]
	v_add_f64 v[72:73], v[76:77], s[24:25]
	s_mov_b32 s24, 0xfca7ab0c
	s_mov_b32 s25, 0x3e928af3
	v_add_f64 v[78:79], v[72:73], s[0:1]
	s_mov_b32 s0, 0xd5df274d
	s_mov_b32 s1, 0x3c8543b0
	s_delay_alu instid0(VALU_DEP_3) | instid1(SALU_CYCLE_1)
	v_add_f64 v[68:69], v[68:69], s[0:1]
	s_mov_b32 s0, 0xfefa39ef
	s_mov_b32 s1, 0x3fe62e42
	s_delay_alu instid0(VALU_DEP_2) | instskip(NEXT) | instid1(VALU_DEP_1)
	v_add_f64 v[76:77], v[76:77], -v[78:79]
	v_add_f64 v[68:69], v[68:69], v[76:77]
	s_delay_alu instid0(VALU_DEP_1) | instskip(NEXT) | instid1(VALU_DEP_1)
	v_add_f64 v[70:71], v[72:73], v[68:69]
	v_add_f64 v[72:73], v[72:73], -v[70:71]
	s_delay_alu instid0(VALU_DEP_1) | instskip(SKIP_1) | instid1(VALU_DEP_1)
	v_add_f64 v[68:69], v[68:69], v[72:73]
	v_add_f64 v[72:73], v[74:75], v[64:65]
	v_mul_f64 v[76:77], v[72:73], v[70:71]
	s_delay_alu instid0(VALU_DEP_1) | instskip(NEXT) | instid1(VALU_DEP_1)
	v_fma_f64 v[78:79], v[72:73], v[70:71], -v[76:77]
	v_fma_f64 v[68:69], v[72:73], v[68:69], v[78:79]
	v_add_f64 v[72:73], v[72:73], -v[74:75]
	s_delay_alu instid0(VALU_DEP_1) | instskip(NEXT) | instid1(VALU_DEP_1)
	v_add_f64 v[64:65], v[64:65], -v[72:73]
	v_fma_f64 v[64:65], v[64:65], v[70:71], v[68:69]
	s_delay_alu instid0(VALU_DEP_1) | instskip(NEXT) | instid1(VALU_DEP_1)
	v_add_f64 v[68:69], v[76:77], v[64:65]
	v_add_f64 v[70:71], v[68:69], -v[76:77]
	s_delay_alu instid0(VALU_DEP_1) | instskip(SKIP_1) | instid1(VALU_DEP_2)
	v_add_f64 v[64:65], v[64:65], -v[70:71]
	v_add_f64 v[70:71], v[62:63], v[68:69]
	v_add_f64 v[60:61], v[60:61], v[64:65]
	s_delay_alu instid0(VALU_DEP_2) | instskip(SKIP_1) | instid1(VALU_DEP_2)
	v_add_f64 v[62:63], v[70:71], -v[62:63]
	v_cvt_f64_i32_e32 v[64:65], v80
	v_add_f64 v[62:63], v[68:69], -v[62:63]
	s_delay_alu instid0(VALU_DEP_2) | instskip(NEXT) | instid1(VALU_DEP_2)
	v_mul_f64 v[68:69], v[64:65], s[0:1]
	v_add_f64 v[60:61], v[60:61], v[62:63]
	s_delay_alu instid0(VALU_DEP_2)
	v_fma_f64 v[72:73], v[64:65], s[0:1], -v[68:69]
	s_mov_b32 s0, 0x3b39803f
	s_mov_b32 s1, 0x3c7abc9e
	s_delay_alu instid0(VALU_DEP_1) | instid1(SALU_CYCLE_1)
	v_fma_f64 v[64:65], v[64:65], s[0:1], v[72:73]
	s_mov_b32 s0, 0x623fde64
	s_mov_b32 s1, 0x3ec71dee
	s_delay_alu instid0(VALU_DEP_1) | instskip(NEXT) | instid1(VALU_DEP_1)
	v_add_f64 v[62:63], v[68:69], v[64:65]
	v_add_f64 v[68:69], v[62:63], -v[68:69]
	s_delay_alu instid0(VALU_DEP_1) | instskip(SKIP_1) | instid1(VALU_DEP_1)
	v_add_f64 v[64:65], v[64:65], -v[68:69]
	v_add_f64 v[68:69], v[70:71], v[60:61]
	v_add_f64 v[72:73], v[62:63], v[68:69]
	v_add_f64 v[70:71], v[68:69], -v[70:71]
	s_delay_alu instid0(VALU_DEP_2) | instskip(NEXT) | instid1(VALU_DEP_2)
	v_add_f64 v[74:75], v[72:73], -v[62:63]
	v_add_f64 v[60:61], v[60:61], -v[70:71]
	s_delay_alu instid0(VALU_DEP_2) | instskip(SKIP_1) | instid1(VALU_DEP_1)
	v_add_f64 v[68:69], v[68:69], -v[74:75]
	v_add_f64 v[74:75], v[72:73], -v[74:75]
	;; [unrolled: 1-line block ×3, first 2 shown]
	s_delay_alu instid0(VALU_DEP_1) | instskip(SKIP_1) | instid1(VALU_DEP_1)
	v_add_f64 v[62:63], v[68:69], v[62:63]
	v_add_f64 v[68:69], v[64:65], v[60:61]
	v_add_f64 v[70:71], v[68:69], -v[64:65]
	s_delay_alu instid0(VALU_DEP_3) | instskip(NEXT) | instid1(VALU_DEP_2)
	v_add_f64 v[62:63], v[68:69], v[62:63]
	v_add_f64 v[60:61], v[60:61], -v[70:71]
	v_add_f64 v[70:71], v[68:69], -v[70:71]
	s_delay_alu instid0(VALU_DEP_1) | instskip(NEXT) | instid1(VALU_DEP_1)
	v_add_f64 v[64:65], v[64:65], -v[70:71]
	v_add_f64 v[60:61], v[60:61], v[64:65]
	v_add_f64 v[64:65], v[72:73], v[62:63]
	s_delay_alu instid0(VALU_DEP_1) | instskip(NEXT) | instid1(VALU_DEP_1)
	v_add_f64 v[68:69], v[64:65], -v[72:73]
	v_add_f64 v[62:63], v[62:63], -v[68:69]
	s_delay_alu instid0(VALU_DEP_1) | instskip(NEXT) | instid1(VALU_DEP_1)
	v_add_f64 v[60:61], v[60:61], v[62:63]
	v_add_f64 v[62:63], v[64:65], v[60:61]
	s_delay_alu instid0(VALU_DEP_1) | instskip(NEXT) | instid1(VALU_DEP_1)
	v_add_f64 v[64:65], v[62:63], -v[64:65]
	v_add_f64 v[64:65], v[60:61], -v[64:65]
	v_cndmask_b32_e64 v61, 0x3fc55555, v25, s38
	v_cndmask_b32_e64 v60, 0x55555555, 0, s38
	s_delay_alu instid0(VALU_DEP_1) | instskip(NEXT) | instid1(VALU_DEP_1)
	v_mul_f64 v[68:69], v[60:61], v[62:63]
	v_fma_f64 v[70:71], v[60:61], v[62:63], -v[68:69]
	v_cmp_class_f64_e64 vcc_lo, v[68:69], 0x204
	s_delay_alu instid0(VALU_DEP_2) | instskip(NEXT) | instid1(VALU_DEP_1)
	v_fma_f64 v[70:71], v[60:61], v[64:65], v[70:71]
	v_add_f64 v[72:73], v[68:69], v[70:71]
	s_delay_alu instid0(VALU_DEP_1) | instskip(SKIP_1) | instid1(VALU_DEP_2)
	v_dual_cndmask_b32 v75, v73, v69 :: v_dual_cndmask_b32 v74, v72, v68
	v_add_f64 v[68:69], v[72:73], -v[68:69]
	v_cmp_neq_f64_e64 vcc_lo, 0x7ff00000, |v[74:75]|
	s_delay_alu instid0(VALU_DEP_2) | instskip(SKIP_1) | instid1(VALU_DEP_2)
	v_add_f64 v[68:69], v[70:71], -v[68:69]
	v_mul_f64 v[70:71], v[74:75], s[86:87]
	v_cndmask_b32_e32 v69, 0, v69, vcc_lo
	s_delay_alu instid0(VALU_DEP_2) | instskip(NEXT) | instid1(VALU_DEP_4)
	v_rndne_f64_e32 v[70:71], v[70:71]
	v_cndmask_b32_e32 v68, 0, v68, vcc_lo
	v_cmp_lt_f64_e32 vcc_lo, 0x40900000, v[74:75]
	s_delay_alu instid0(VALU_DEP_3) | instskip(SKIP_1) | instid1(VALU_DEP_2)
	v_fma_f64 v[72:73], v[70:71], s[72:73], v[74:75]
	v_cvt_i32_f64_e32 v27, v[70:71]
	v_fma_f64 v[72:73], v[70:71], s[4:5], v[72:73]
	s_delay_alu instid0(VALU_DEP_1) | instskip(NEXT) | instid1(VALU_DEP_1)
	v_fma_f64 v[76:77], v[72:73], s[40:41], s[24:25]
	v_fma_f64 v[76:77], v[72:73], v[76:77], s[0:1]
	s_mov_b32 s0, 0x7c89e6b0
	s_mov_b32 s1, 0x3efa0199
	s_delay_alu instid0(VALU_DEP_1) | instid1(SALU_CYCLE_1)
	v_fma_f64 v[76:77], v[72:73], v[76:77], s[0:1]
	s_mov_b32 s0, 0x14761f6e
	s_mov_b32 s1, 0x3f2a01a0
	s_delay_alu instid0(VALU_DEP_1) | instid1(SALU_CYCLE_1)
	;; [unrolled: 4-line block ×3, first 2 shown]
	v_fma_f64 v[76:77], v[72:73], v[76:77], s[0:1]
	s_mov_b32 s0, 11
	s_mov_b32 s1, 0x3fe00000
	s_delay_alu instid0(VALU_DEP_1) | instskip(NEXT) | instid1(VALU_DEP_1)
	v_fma_f64 v[76:77], v[72:73], v[76:77], s[64:65]
	v_fma_f64 v[76:77], v[72:73], v[76:77], s[88:89]
	s_delay_alu instid0(VALU_DEP_1) | instskip(NEXT) | instid1(VALU_DEP_1)
	v_fma_f64 v[76:77], v[72:73], v[76:77], s[70:71]
	v_fma_f64 v[76:77], v[72:73], v[76:77], s[0:1]
	s_delay_alu instid0(VALU_DEP_1) | instskip(NEXT) | instid1(VALU_DEP_1)
	v_fma_f64 v[76:77], v[72:73], v[76:77], 1.0
	v_fma_f64 v[72:73], v[72:73], v[76:77], 1.0
	s_delay_alu instid0(VALU_DEP_1) | instskip(NEXT) | instid1(VALU_DEP_1)
	v_ldexp_f64 v[70:71], v[72:73], v27
	v_cndmask_b32_e64 v27, v71, 0x7ff00000, vcc_lo
	v_and_b32_e32 v71, 0x7fffffff, v71
	s_delay_alu instid0(VALU_DEP_3) | instskip(NEXT) | instid1(VALU_DEP_2)
	v_cndmask_b32_e64 v72, v70, 0, vcc_lo
	v_cmp_eq_f64_e64 s1, 0x7ff00000, v[70:71]
	s_delay_alu instid0(VALU_DEP_1) | instskip(SKIP_1) | instid1(VALU_DEP_3)
	s_or_b32 s1, vcc_lo, s1
	v_cmp_ngt_f64_e32 vcc_lo, 0xc090cc00, v[74:75]
	v_dual_cndmask_b32 v71, 0, v27 :: v_dual_cndmask_b32 v70, 0, v72
	s_and_b32 vcc_lo, vcc_lo, s1
	s_delay_alu instid0(VALU_DEP_1) | instskip(NEXT) | instid1(VALU_DEP_1)
	v_fma_f64 v[68:69], v[70:71], v[68:69], v[70:71]
	v_dual_cndmask_b32 v27, v68, v70 :: v_dual_cndmask_b32 v72, v69, v71
	v_trunc_f64_e32 v[68:69], v[60:61]
	s_delay_alu instid0(VALU_DEP_1) | instskip(SKIP_1) | instid1(VALU_DEP_4)
	v_cmp_eq_f64_e32 vcc_lo, v[68:69], v[60:61]
	v_mul_f64 v[68:69], v[60:61], 0.5
	v_cndmask_b32_e32 v73, 0, v27, vcc_lo
	s_delay_alu instid0(VALU_DEP_2) | instskip(NEXT) | instid1(VALU_DEP_2)
	v_trunc_f64_e32 v[70:71], v[68:69]
	v_cndmask_b32_e64 v27, v27, v73, s44
	s_delay_alu instid0(VALU_DEP_2) | instskip(NEXT) | instid1(VALU_DEP_1)
	v_cmp_neq_f64_e64 s1, v[70:71], v[68:69]
	s_and_b32 s1, vcc_lo, s1
	s_delay_alu instid0(SALU_CYCLE_1) | instskip(SKIP_3) | instid1(VALU_DEP_2)
	v_cndmask_b32_e64 v61, 0x3ff00000, v57, s1
	v_cndmask_b32_e64 v68, 0, v57, s1
	s_mov_b32 s0, 0x45a1cac1
	s_mov_b32 s1, 0x401033b6
	v_bfi_b32 v61, 0x7fffffff, v72, v61
	s_delay_alu instid0(VALU_DEP_1) | instskip(SKIP_1) | instid1(VALU_DEP_2)
	v_cndmask_b32_e32 v69, 0x7ff80000, v61, vcc_lo
	v_cmp_eq_f64_e32 vcc_lo, 0, v[56:57]
	v_cndmask_b32_e64 v61, v61, v69, s44
	v_cndmask_b32_e64 v78, 0x7ff00000, 0, vcc_lo
	s_or_b32 s46, vcc_lo, s2
	s_delay_alu instid0(VALU_DEP_1) | instskip(NEXT) | instid1(VALU_DEP_1)
	v_bfi_b32 v68, 0x7fffffff, v78, v68
	v_cndmask_b32_e64 v69, v61, v68, s46
	v_cndmask_b32_e64 v68, v27, 0, s46
	;; [unrolled: 1-line block ×3, first 2 shown]
	s_delay_alu instid0(VALU_DEP_2) | instskip(NEXT) | instid1(VALU_DEP_1)
	v_div_scale_f64 v[70:71], null, v[68:69], v[68:69], s[0:1]
	v_rcp_f64_e32 v[72:73], v[70:71]
	s_waitcnt_depctr 0xfff
	v_fma_f64 v[74:75], -v[70:71], v[72:73], 1.0
	s_delay_alu instid0(VALU_DEP_1) | instskip(NEXT) | instid1(VALU_DEP_1)
	v_fma_f64 v[72:73], v[72:73], v[74:75], v[72:73]
	v_fma_f64 v[74:75], -v[70:71], v[72:73], 1.0
	s_delay_alu instid0(VALU_DEP_1) | instskip(SKIP_3) | instid1(VALU_DEP_1)
	v_fma_f64 v[72:73], v[72:73], v[74:75], v[72:73]
	v_div_scale_f64 v[74:75], vcc_lo, s[0:1], v[68:69], s[0:1]
	s_mov_b32 s0, 0x623fde64
	s_mov_b32 s1, 0x3ec71dee
	v_mul_f64 v[76:77], v[74:75], v[72:73]
	s_delay_alu instid0(VALU_DEP_1) | instskip(NEXT) | instid1(VALU_DEP_1)
	v_fma_f64 v[70:71], -v[70:71], v[76:77], v[74:75]
	v_div_fmas_f64 v[70:71], v[70:71], v[72:73], v[76:77]
	v_mul_f64 v[72:73], v[26:27], v[62:63]
	s_delay_alu instid0(VALU_DEP_1) | instskip(SKIP_1) | instid1(VALU_DEP_2)
	v_fma_f64 v[74:75], v[26:27], v[62:63], -v[72:73]
	v_cmp_class_f64_e64 vcc_lo, v[72:73], 0x204
	v_fma_f64 v[74:75], v[26:27], v[64:65], v[74:75]
	s_delay_alu instid0(VALU_DEP_1) | instskip(NEXT) | instid1(VALU_DEP_1)
	v_add_f64 v[76:77], v[72:73], v[74:75]
	v_dual_cndmask_b32 v80, v77, v73 :: v_dual_cndmask_b32 v79, v76, v72
	v_add_f64 v[72:73], v[76:77], -v[72:73]
	s_delay_alu instid0(VALU_DEP_2) | instskip(NEXT) | instid1(VALU_DEP_2)
	v_cmp_neq_f64_e64 vcc_lo, 0x7ff00000, |v[79:80]|
	v_add_f64 v[72:73], v[74:75], -v[72:73]
	v_mul_f64 v[74:75], v[79:80], s[86:87]
	s_mov_b32 s86, s42
	s_delay_alu instid0(VALU_DEP_2) | instskip(NEXT) | instid1(VALU_DEP_2)
	v_cndmask_b32_e32 v73, 0, v73, vcc_lo
	v_rndne_f64_e32 v[74:75], v[74:75]
	s_delay_alu instid0(VALU_DEP_1) | instskip(SKIP_1) | instid1(VALU_DEP_2)
	v_fma_f64 v[76:77], v[74:75], s[72:73], v[79:80]
	v_cvt_i32_f64_e32 v61, v[74:75]
	v_fma_f64 v[76:77], v[74:75], s[4:5], v[76:77]
	s_delay_alu instid0(VALU_DEP_1) | instskip(SKIP_2) | instid1(SALU_CYCLE_1)
	v_fma_f64 v[81:82], v[76:77], s[40:41], s[24:25]
	s_mov_b32 s24, 0x380646ba
	s_mov_b32 s25, 0x3a8067c6
	v_mul_f64 v[58:59], v[58:59], s[24:25]
	s_delay_alu instid0(VALU_DEP_2)
	v_fma_f64 v[81:82], v[76:77], v[81:82], s[0:1]
	s_mov_b32 s0, 0x7c89e6b0
	s_mov_b32 s1, 0x3efa0199
	s_delay_alu instid0(VALU_DEP_1) | instid1(SALU_CYCLE_1)
	v_fma_f64 v[81:82], v[76:77], v[81:82], s[0:1]
	s_mov_b32 s0, 0x14761f6e
	s_mov_b32 s1, 0x3f2a01a0
	s_delay_alu instid0(VALU_DEP_1) | instid1(SALU_CYCLE_1)
	;; [unrolled: 4-line block ×3, first 2 shown]
	v_fma_f64 v[81:82], v[76:77], v[81:82], s[0:1]
	s_mov_b32 s0, 11
	s_mov_b32 s1, 0x3fe00000
	s_delay_alu instid0(VALU_DEP_1) | instskip(SKIP_3) | instid1(VALU_DEP_1)
	v_fma_f64 v[81:82], v[76:77], v[81:82], s[64:65]
	s_mov_b64 s[64:65], s[72:73]
	s_mov_b32 s72, 0x7c89e6b0
	s_mov_b32 s73, 0x3efa0199
	v_fma_f64 v[81:82], v[76:77], v[81:82], s[88:89]
	s_delay_alu instid0(VALU_DEP_1) | instskip(SKIP_2) | instid1(VALU_DEP_1)
	v_fma_f64 v[81:82], v[76:77], v[81:82], s[70:71]
	s_mov_b32 s70, 0x652b82fe
	s_mov_b32 s71, 0x3ff71547
	v_fma_f64 v[81:82], v[76:77], v[81:82], s[0:1]
	s_mov_b32 s0, 0x9999999c
	s_mov_b32 s1, 0x3fd99999
	s_delay_alu instid0(SALU_CYCLE_1) | instskip(SKIP_2) | instid1(VALU_DEP_1)
	s_mov_b32 s87, s1
	s_mov_b32 s0, 0xd1b717
	;; [unrolled: 1-line block ×3, first 2 shown]
	v_fma_f64 v[81:82], v[76:77], v[81:82], 1.0
	s_delay_alu instid0(VALU_DEP_1) | instskip(NEXT) | instid1(VALU_DEP_1)
	v_fma_f64 v[76:77], v[76:77], v[81:82], 1.0
	v_ldexp_f64 v[74:75], v[76:77], v61
	v_cndmask_b32_e32 v72, 0, v72, vcc_lo
	v_cmp_lt_f64_e32 vcc_lo, 0x40900000, v[79:80]
	s_delay_alu instid0(VALU_DEP_3) | instskip(SKIP_2) | instid1(VALU_DEP_2)
	v_cndmask_b32_e64 v61, v75, 0x7ff00000, vcc_lo
	v_and_b32_e32 v75, 0x7fffffff, v75
	v_cndmask_b32_e64 v76, v74, 0, vcc_lo
	v_cmp_eq_f64_e64 s3, 0x7ff00000, v[74:75]
	s_delay_alu instid0(VALU_DEP_1) | instskip(SKIP_1) | instid1(VALU_DEP_3)
	s_or_b32 s3, vcc_lo, s3
	v_cmp_ngt_f64_e32 vcc_lo, 0xc090cc00, v[79:80]
	v_dual_cndmask_b32 v75, 0, v61 :: v_dual_cndmask_b32 v74, 0, v76
	s_and_b32 vcc_lo, vcc_lo, s3
	s_delay_alu instid0(VALU_DEP_1) | instskip(NEXT) | instid1(VALU_DEP_1)
	v_fma_f64 v[72:73], v[74:75], v[72:73], v[74:75]
	v_dual_cndmask_b32 v61, v72, v74 :: v_dual_cndmask_b32 v76, v73, v75
	v_trunc_f64_e32 v[72:73], v[26:27]
	s_delay_alu instid0(VALU_DEP_1) | instskip(SKIP_1) | instid1(VALU_DEP_4)
	v_cmp_eq_f64_e32 vcc_lo, v[72:73], v[26:27]
	v_mul_f64 v[72:73], v[26:27], 0.5
	v_cndmask_b32_e32 v77, 0, v61, vcc_lo
	s_delay_alu instid0(VALU_DEP_2) | instskip(NEXT) | instid1(VALU_DEP_2)
	v_trunc_f64_e32 v[74:75], v[72:73]
	v_cndmask_b32_e64 v61, v61, v77, s44
	s_delay_alu instid0(VALU_DEP_2) | instskip(NEXT) | instid1(VALU_DEP_1)
	v_cmp_neq_f64_e64 s3, v[74:75], v[72:73]
	s_and_b32 s3, vcc_lo, s3
	s_delay_alu instid0(SALU_CYCLE_1) | instskip(SKIP_3) | instid1(VALU_DEP_2)
	v_cndmask_b32_e64 v27, 0x3ff00000, v57, s3
	v_cndmask_b32_e64 v73, 0, v57, s3
	s_mov_b32 s2, 0x55555511
	s_mov_b32 s3, 0x3fc55555
	v_bfi_b32 v27, 0x7fffffff, v76, v27
	s_delay_alu instid0(VALU_DEP_1) | instskip(NEXT) | instid1(VALU_DEP_1)
	v_cndmask_b32_e32 v72, 0x7ff80000, v27, vcc_lo
	v_cndmask_b32_e64 v27, v27, v72, s44
	v_bfi_b32 v72, 0x7fffffff, v78, v73
	s_delay_alu instid0(VALU_DEP_1) | instskip(SKIP_1) | instid1(VALU_DEP_1)
	v_cndmask_b32_e64 v73, v27, v72, s46
	v_cndmask_b32_e64 v72, v61, 0, s46
	v_div_scale_f64 v[74:75], null, v[72:73], v[72:73], s[86:87]
	s_delay_alu instid0(VALU_DEP_1) | instskip(SKIP_2) | instid1(VALU_DEP_1)
	v_rcp_f64_e32 v[76:77], v[74:75]
	s_waitcnt_depctr 0xfff
	v_fma_f64 v[79:80], -v[74:75], v[76:77], 1.0
	v_fma_f64 v[76:77], v[76:77], v[79:80], v[76:77]
	s_delay_alu instid0(VALU_DEP_1) | instskip(NEXT) | instid1(VALU_DEP_1)
	v_fma_f64 v[79:80], -v[74:75], v[76:77], 1.0
	v_fma_f64 v[76:77], v[76:77], v[79:80], v[76:77]
	v_div_scale_f64 v[79:80], vcc_lo, s[86:87], v[72:73], s[86:87]
	s_delay_alu instid0(VALU_DEP_1) | instskip(NEXT) | instid1(VALU_DEP_1)
	v_mul_f64 v[81:82], v[79:80], v[76:77]
	v_fma_f64 v[74:75], -v[74:75], v[81:82], v[79:80]
	s_delay_alu instid0(VALU_DEP_1) | instskip(SKIP_1) | instid1(VALU_DEP_2)
	v_div_fmas_f64 v[74:75], v[74:75], v[76:77], v[81:82]
	v_cmp_gt_f64_e32 vcc_lo, 0x10000000, v[56:57]
	v_div_fixup_f64 v[72:73], v[74:75], v[72:73], s[86:87]
	v_cndmask_b32_e64 v27, 0, 1, vcc_lo
	v_cndmask_b32_e64 v61, 0, 0xffffff80, vcc_lo
	s_mov_b32 s86, 0x1852b7b0
	s_mov_b32 s87, 0x3f56c16c
	s_delay_alu instid0(VALU_DEP_2) | instskip(NEXT) | instid1(VALU_DEP_1)
	v_lshlrev_b32_e32 v27, 8, v27
	v_ldexp_f64 v[74:75], v[56:57], v27
	s_delay_alu instid0(VALU_DEP_1) | instskip(SKIP_4) | instid1(VALU_DEP_1)
	v_rsq_f64_e32 v[76:77], v[74:75]
	v_cmp_class_f64_e64 vcc_lo, v[74:75], 0x260
	s_waitcnt_depctr 0xfff
	v_mul_f64 v[79:80], v[74:75], v[76:77]
	v_mul_f64 v[76:77], v[76:77], 0.5
	v_fma_f64 v[81:82], -v[76:77], v[79:80], 0.5
	s_delay_alu instid0(VALU_DEP_1) | instskip(SKIP_1) | instid1(VALU_DEP_2)
	v_fma_f64 v[79:80], v[79:80], v[81:82], v[79:80]
	v_fma_f64 v[76:77], v[76:77], v[81:82], v[76:77]
	v_fma_f64 v[81:82], -v[79:80], v[79:80], v[74:75]
	s_delay_alu instid0(VALU_DEP_1) | instskip(NEXT) | instid1(VALU_DEP_1)
	v_fma_f64 v[79:80], v[81:82], v[76:77], v[79:80]
	v_fma_f64 v[81:82], -v[79:80], v[79:80], v[74:75]
	s_delay_alu instid0(VALU_DEP_1) | instskip(NEXT) | instid1(VALU_DEP_1)
	v_fma_f64 v[76:77], v[81:82], v[76:77], v[79:80]
	v_ldexp_f64 v[76:77], v[76:77], v61
	v_cndmask_b32_e64 v61, 0x3fd55555, v25, s38
	s_delay_alu instid0(VALU_DEP_2) | instskip(NEXT) | instid1(VALU_DEP_1)
	v_dual_cndmask_b32 v75, v77, v75 :: v_dual_cndmask_b32 v74, v76, v74
	v_div_scale_f64 v[76:77], null, v[74:75], v[74:75], s[0:1]
	s_delay_alu instid0(VALU_DEP_1) | instskip(SKIP_2) | instid1(VALU_DEP_1)
	v_rcp_f64_e32 v[79:80], v[76:77]
	s_waitcnt_depctr 0xfff
	v_fma_f64 v[81:82], -v[76:77], v[79:80], 1.0
	v_fma_f64 v[79:80], v[79:80], v[81:82], v[79:80]
	s_delay_alu instid0(VALU_DEP_1) | instskip(NEXT) | instid1(VALU_DEP_1)
	v_fma_f64 v[81:82], -v[76:77], v[79:80], 1.0
	v_fma_f64 v[79:80], v[79:80], v[81:82], v[79:80]
	v_div_scale_f64 v[81:82], vcc_lo, s[0:1], v[74:75], s[0:1]
	s_mov_b32 s0, 0xf3a00000
	s_mov_b32 s1, 0x421beb9b
	s_delay_alu instid0(VALU_DEP_1) | instskip(NEXT) | instid1(VALU_DEP_1)
	v_mul_f64 v[83:84], v[81:82], v[79:80]
	v_fma_f64 v[76:77], -v[76:77], v[83:84], v[81:82]
	s_delay_alu instid0(VALU_DEP_1) | instskip(SKIP_1) | instid1(VALU_DEP_1)
	v_div_fmas_f64 v[76:77], v[76:77], v[79:80], v[83:84]
	v_div_scale_f64 v[79:80], null, s[0:1], s[0:1], v[58:59]
	v_rcp_f64_e32 v[81:82], v[79:80]
	s_waitcnt_depctr 0xfff
	v_fma_f64 v[83:84], -v[79:80], v[81:82], 1.0
	s_delay_alu instid0(VALU_DEP_1) | instskip(NEXT) | instid1(VALU_DEP_1)
	v_fma_f64 v[81:82], v[81:82], v[83:84], v[81:82]
	v_fma_f64 v[83:84], -v[79:80], v[81:82], 1.0
	s_delay_alu instid0(VALU_DEP_1) | instskip(SKIP_1) | instid1(VALU_DEP_1)
	v_fma_f64 v[81:82], v[81:82], v[83:84], v[81:82]
	v_div_scale_f64 v[83:84], vcc_lo, v[58:59], s[0:1], v[58:59]
	v_mul_f64 v[85:86], v[83:84], v[81:82]
	s_delay_alu instid0(VALU_DEP_1) | instskip(NEXT) | instid1(VALU_DEP_1)
	v_fma_f64 v[79:80], -v[79:80], v[85:86], v[83:84]
	v_div_fmas_f64 v[79:80], v[79:80], v[81:82], v[85:86]
	s_delay_alu instid0(VALU_DEP_1) | instskip(NEXT) | instid1(VALU_DEP_1)
	v_div_fixup_f64 v[58:59], v[79:80], s[0:1], v[58:59]
	v_div_scale_f64 v[79:80], null, s[0:1], s[0:1], v[58:59]
	s_delay_alu instid0(VALU_DEP_1) | instskip(SKIP_2) | instid1(VALU_DEP_1)
	v_rcp_f64_e32 v[81:82], v[79:80]
	s_waitcnt_depctr 0xfff
	v_fma_f64 v[83:84], -v[79:80], v[81:82], 1.0
	v_fma_f64 v[81:82], v[81:82], v[83:84], v[81:82]
	s_delay_alu instid0(VALU_DEP_1) | instskip(NEXT) | instid1(VALU_DEP_1)
	v_fma_f64 v[83:84], -v[79:80], v[81:82], 1.0
	v_fma_f64 v[81:82], v[81:82], v[83:84], v[81:82]
	v_div_scale_f64 v[83:84], vcc_lo, v[58:59], s[0:1], v[58:59]
	s_mov_b32 s0, 0x623fde64
	s_mov_b32 s1, 0x3ec71dee
	s_delay_alu instid0(VALU_DEP_1) | instskip(NEXT) | instid1(VALU_DEP_1)
	v_mul_f64 v[85:86], v[83:84], v[81:82]
	v_fma_f64 v[79:80], -v[79:80], v[85:86], v[83:84]
	s_delay_alu instid0(VALU_DEP_1)
	v_div_fmas_f64 v[79:80], v[79:80], v[81:82], v[85:86]
	v_mul_f64 v[81:82], v[50:51], s[24:25]
	s_mov_b32 s24, 0x9cd9fbd6
	s_mov_b32 s25, 0x3ca3e5ba
	s_delay_alu instid0(VALU_DEP_1) | instid1(SALU_CYCLE_1)
	v_div_scale_f64 v[83:84], null, s[24:25], s[24:25], v[81:82]
	s_delay_alu instid0(VALU_DEP_1) | instskip(SKIP_2) | instid1(VALU_DEP_1)
	v_rcp_f64_e32 v[85:86], v[83:84]
	s_waitcnt_depctr 0xfff
	v_fma_f64 v[87:88], -v[83:84], v[85:86], 1.0
	v_fma_f64 v[85:86], v[85:86], v[87:88], v[85:86]
	s_delay_alu instid0(VALU_DEP_1) | instskip(NEXT) | instid1(VALU_DEP_1)
	v_fma_f64 v[87:88], -v[83:84], v[85:86], 1.0
	v_fma_f64 v[85:86], v[85:86], v[87:88], v[85:86]
	v_div_scale_f64 v[87:88], vcc_lo, v[81:82], s[24:25], v[81:82]
	s_delay_alu instid0(VALU_DEP_1) | instskip(NEXT) | instid1(VALU_DEP_1)
	v_mul_f64 v[89:90], v[87:88], v[85:86]
	v_fma_f64 v[83:84], -v[83:84], v[89:90], v[87:88]
	s_delay_alu instid0(VALU_DEP_1) | instskip(NEXT) | instid1(VALU_DEP_1)
	v_div_fmas_f64 v[83:84], v[83:84], v[85:86], v[89:90]
	v_div_fixup_f64 v[81:82], v[83:84], s[24:25], v[81:82]
	s_mov_b32 s24, 0xfca7ab0c
	s_mov_b32 s25, 0x3e928af3
	s_delay_alu instid0(VALU_DEP_1) | instskip(NEXT) | instid1(VALU_DEP_1)
	v_div_scale_f64 v[83:84], null, v[66:67], v[66:67], v[81:82]
	v_rcp_f64_e32 v[85:86], v[83:84]
	s_waitcnt_depctr 0xfff
	v_fma_f64 v[87:88], -v[83:84], v[85:86], 1.0
	s_delay_alu instid0(VALU_DEP_1) | instskip(NEXT) | instid1(VALU_DEP_1)
	v_fma_f64 v[85:86], v[85:86], v[87:88], v[85:86]
	v_fma_f64 v[87:88], -v[83:84], v[85:86], 1.0
	s_delay_alu instid0(VALU_DEP_1) | instskip(SKIP_1) | instid1(VALU_DEP_1)
	v_fma_f64 v[85:86], v[85:86], v[87:88], v[85:86]
	v_div_scale_f64 v[87:88], vcc_lo, v[81:82], v[66:67], v[81:82]
	v_mul_f64 v[89:90], v[87:88], v[85:86]
	s_delay_alu instid0(VALU_DEP_1) | instskip(NEXT) | instid1(VALU_DEP_1)
	v_fma_f64 v[83:84], -v[83:84], v[89:90], v[87:88]
	v_div_fmas_f64 v[83:84], v[83:84], v[85:86], v[89:90]
	s_delay_alu instid0(VALU_DEP_1) | instskip(NEXT) | instid1(VALU_DEP_1)
	v_div_fixup_f64 v[66:67], v[83:84], v[66:67], v[81:82]
	v_mul_f64 v[81:82], v[66:67], s[70:71]
	v_cmp_nlt_f64_e32 vcc_lo, 0x40900000, v[66:67]
	s_delay_alu instid0(VALU_DEP_2) | instskip(NEXT) | instid1(VALU_DEP_1)
	v_rndne_f64_e32 v[81:82], v[81:82]
	v_fma_f64 v[83:84], v[81:82], s[64:65], v[66:67]
	v_cvt_i32_f64_e32 v27, v[81:82]
	s_delay_alu instid0(VALU_DEP_2) | instskip(NEXT) | instid1(VALU_DEP_1)
	v_fma_f64 v[83:84], v[81:82], s[4:5], v[83:84]
	v_fma_f64 v[85:86], v[83:84], s[40:41], s[24:25]
	s_delay_alu instid0(VALU_DEP_1) | instskip(SKIP_2) | instid1(VALU_DEP_1)
	v_fma_f64 v[85:86], v[83:84], v[85:86], s[0:1]
	s_mov_b32 s0, 0x14761f6e
	s_mov_b32 s1, 0x3f2a01a0
	v_fma_f64 v[85:86], v[83:84], v[85:86], s[72:73]
	s_delay_alu instid0(VALU_DEP_1) | instskip(SKIP_2) | instid1(VALU_DEP_3)
	v_fma_f64 v[85:86], v[83:84], v[85:86], s[0:1]
	v_readlane_b32 s0, v184, 10
	v_readlane_b32 s1, v184, 11
	v_fma_f64 v[85:86], v[83:84], v[85:86], s[86:87]
	s_delay_alu instid0(VALU_DEP_1) | instskip(NEXT) | instid1(VALU_DEP_1)
	v_fma_f64 v[85:86], v[83:84], v[85:86], s[0:1]
	v_fma_f64 v[85:86], v[83:84], v[85:86], s[88:89]
	s_delay_alu instid0(VALU_DEP_1)
	v_fma_f64 v[85:86], v[83:84], v[85:86], s[2:3]
	s_mov_b32 s2, 11
	s_mov_b32 s3, 0x3fe00000
	s_delay_alu instid0(VALU_DEP_1) | instid1(SALU_CYCLE_1)
	v_fma_f64 v[85:86], v[83:84], v[85:86], s[2:3]
	v_cmp_ngt_f64_e64 s3, 0xc090cc00, v[66:67]
	s_delay_alu instid0(VALU_DEP_2) | instskip(NEXT) | instid1(VALU_DEP_1)
	v_fma_f64 v[85:86], v[83:84], v[85:86], 1.0
	v_fma_f64 v[83:84], v[83:84], v[85:86], 1.0
	s_delay_alu instid0(VALU_DEP_1) | instskip(NEXT) | instid1(VALU_DEP_1)
	v_ldexp_f64 v[81:82], v[83:84], v27
	v_add_f64 v[81:82], v[81:82], -1.0
	s_delay_alu instid0(VALU_DEP_1) | instskip(SKIP_1) | instid1(VALU_DEP_2)
	v_cndmask_b32_e32 v27, 0x7ff00000, v82, vcc_lo
	s_and_b32 vcc_lo, s3, vcc_lo
	v_cndmask_b32_e32 v66, 0, v81, vcc_lo
	s_delay_alu instid0(VALU_DEP_2) | instskip(SKIP_2) | instid1(SALU_CYCLE_1)
	v_cndmask_b32_e64 v67, 0xbff00000, v27, s3
	s_mov_b32 s2, 0xf3a00000
	s_mov_b32 s3, 0x421beb9b
	v_div_fixup_f64 v[58:59], v[79:80], s[2:3], v[58:59]
	s_mov_b32 s2, 0x623fde64
	s_mov_b32 s3, 0x3ec71dee
	s_delay_alu instid0(VALU_DEP_1) | instskip(NEXT) | instid1(VALU_DEP_1)
	v_div_scale_f64 v[79:80], null, v[66:67], v[66:67], v[58:59]
	v_rcp_f64_e32 v[81:82], v[79:80]
	s_waitcnt_depctr 0xfff
	v_fma_f64 v[83:84], -v[79:80], v[81:82], 1.0
	s_delay_alu instid0(VALU_DEP_1) | instskip(NEXT) | instid1(VALU_DEP_1)
	v_fma_f64 v[81:82], v[81:82], v[83:84], v[81:82]
	v_fma_f64 v[83:84], -v[79:80], v[81:82], 1.0
	s_delay_alu instid0(VALU_DEP_1) | instskip(SKIP_1) | instid1(VALU_DEP_1)
	v_fma_f64 v[81:82], v[81:82], v[83:84], v[81:82]
	v_div_scale_f64 v[83:84], vcc_lo, v[58:59], v[66:67], v[58:59]
	v_mul_f64 v[85:86], v[83:84], v[81:82]
	s_delay_alu instid0(VALU_DEP_1) | instskip(NEXT) | instid1(VALU_DEP_1)
	v_fma_f64 v[79:80], -v[79:80], v[85:86], v[83:84]
	v_div_fmas_f64 v[79:80], v[79:80], v[81:82], v[85:86]
	v_mul_f64 v[81:82], v[60:61], v[62:63]
	s_delay_alu instid0(VALU_DEP_1) | instskip(SKIP_1) | instid1(VALU_DEP_2)
	v_fma_f64 v[62:63], v[60:61], v[62:63], -v[81:82]
	v_cmp_class_f64_e64 vcc_lo, v[81:82], 0x204
	v_fma_f64 v[62:63], v[60:61], v[64:65], v[62:63]
	s_delay_alu instid0(VALU_DEP_1) | instskip(NEXT) | instid1(VALU_DEP_1)
	v_add_f64 v[64:65], v[81:82], v[62:63]
	v_dual_cndmask_b32 v84, v65, v82 :: v_dual_cndmask_b32 v83, v64, v81
	v_add_f64 v[64:65], v[64:65], -v[81:82]
	s_delay_alu instid0(VALU_DEP_2) | instskip(NEXT) | instid1(VALU_DEP_2)
	v_cmp_neq_f64_e64 vcc_lo, 0x7ff00000, |v[83:84]|
	v_add_f64 v[62:63], v[62:63], -v[64:65]
	v_mul_f64 v[64:65], v[83:84], s[70:71]
	s_mov_b64 s[70:71], s[4:5]
	s_delay_alu instid0(VALU_DEP_2) | instskip(NEXT) | instid1(VALU_DEP_2)
	v_cndmask_b32_e32 v63, 0, v63, vcc_lo
	v_rndne_f64_e32 v[64:65], v[64:65]
	s_delay_alu instid0(VALU_DEP_4) | instskip(SKIP_1) | instid1(VALU_DEP_3)
	v_cndmask_b32_e32 v62, 0, v62, vcc_lo
	v_cmp_lt_f64_e32 vcc_lo, 0x40900000, v[83:84]
	v_fma_f64 v[81:82], v[64:65], s[64:65], v[83:84]
	v_cvt_i32_f64_e32 v27, v[64:65]
	s_delay_alu instid0(VALU_DEP_2) | instskip(SKIP_2) | instid1(VALU_DEP_1)
	v_fma_f64 v[81:82], v[64:65], s[4:5], v[81:82]
	s_mov_b32 s4, 0x55555511
	s_mov_b32 s5, 0x3fc55555
	v_fma_f64 v[85:86], v[81:82], s[40:41], s[24:25]
	s_mov_b64 s[40:41], s[88:89]
	s_mov_b32 s24, 0x14761f6e
	s_mov_b32 s25, 0x3f2a01a0
	s_delay_alu instid0(VALU_DEP_1) | instskip(SKIP_2) | instid1(VALU_DEP_1)
	v_fma_f64 v[85:86], v[81:82], v[85:86], s[2:3]
	s_mov_b32 s2, 0x14761f6e
	s_mov_b32 s3, 0x3f2a01a0
	v_fma_f64 v[85:86], v[81:82], v[85:86], s[72:73]
	s_mov_b32 s72, 11
	s_mov_b32 s73, 0x3fe00000
	s_delay_alu instid0(VALU_DEP_1) | instskip(SKIP_3) | instid1(VALU_DEP_1)
	v_fma_f64 v[85:86], v[81:82], v[85:86], s[2:3]
	s_mov_b64 s[2:3], s[0:1]
	s_mov_b32 s0, 0x55555511
	s_mov_b32 s1, 0x3fc55555
	v_fma_f64 v[85:86], v[81:82], v[85:86], s[86:87]
	s_delay_alu instid0(VALU_DEP_1) | instskip(NEXT) | instid1(VALU_DEP_1)
	v_fma_f64 v[85:86], v[81:82], v[85:86], s[2:3]
	v_fma_f64 v[85:86], v[81:82], v[85:86], s[88:89]
	s_mov_b32 s88, 0x6a5dcb37
	s_mov_b32 s89, 0x3e5ade15
	s_delay_alu instid0(VALU_DEP_1)
	v_fma_f64 v[85:86], v[81:82], v[85:86], s[0:1]
	s_mov_b32 s0, 11
	s_mov_b32 s1, 0x3fe00000
	s_delay_alu instid0(VALU_DEP_1) | instid1(SALU_CYCLE_1)
	v_fma_f64 v[85:86], v[81:82], v[85:86], s[0:1]
	s_delay_alu instid0(VALU_DEP_1) | instskip(NEXT) | instid1(VALU_DEP_1)
	v_fma_f64 v[85:86], v[81:82], v[85:86], 1.0
	v_fma_f64 v[81:82], v[81:82], v[85:86], 1.0
	s_delay_alu instid0(VALU_DEP_1) | instskip(NEXT) | instid1(VALU_DEP_1)
	v_ldexp_f64 v[64:65], v[81:82], v27
	v_cndmask_b32_e64 v27, v65, 0x7ff00000, vcc_lo
	v_and_b32_e32 v65, 0x7fffffff, v65
	s_delay_alu instid0(VALU_DEP_3) | instskip(NEXT) | instid1(VALU_DEP_2)
	v_cndmask_b32_e64 v81, v64, 0, vcc_lo
	v_cmp_eq_f64_e64 s0, 0x7ff00000, v[64:65]
	s_delay_alu instid0(VALU_DEP_1) | instskip(SKIP_1) | instid1(VALU_DEP_3)
	s_or_b32 s0, vcc_lo, s0
	v_cmp_ngt_f64_e32 vcc_lo, 0xc090cc00, v[83:84]
	v_dual_cndmask_b32 v65, 0, v27 :: v_dual_cndmask_b32 v64, 0, v81
	s_and_b32 vcc_lo, vcc_lo, s0
	s_delay_alu instid0(VALU_DEP_1) | instskip(NEXT) | instid1(VALU_DEP_1)
	v_fma_f64 v[62:63], v[64:65], v[62:63], v[64:65]
	v_cndmask_b32_e32 v27, v62, v64, vcc_lo
	s_delay_alu instid0(VALU_DEP_2) | instskip(SKIP_2) | instid1(VALU_DEP_2)
	v_cndmask_b32_e32 v81, v63, v65, vcc_lo
	v_trunc_f64_e32 v[62:63], v[60:61]
	v_mul_f64 v[64:65], v[60:61], 0.5
	v_cmp_eq_f64_e32 vcc_lo, v[62:63], v[60:61]
	s_delay_alu instid0(VALU_DEP_2) | instskip(SKIP_1) | instid1(VALU_DEP_2)
	v_trunc_f64_e32 v[60:61], v[64:65]
	v_cndmask_b32_e32 v62, 0, v27, vcc_lo
	v_cmp_neq_f64_e64 s0, v[60:61], v[64:65]
	s_delay_alu instid0(VALU_DEP_2) | instskip(NEXT) | instid1(VALU_DEP_2)
	v_cndmask_b32_e64 v27, v27, v62, s44
	s_and_b32 s0, vcc_lo, s0
	s_delay_alu instid0(SALU_CYCLE_1) | instskip(NEXT) | instid1(VALU_DEP_1)
	v_cndmask_b32_e64 v60, 0x3ff00000, v57, s0
	v_bfi_b32 v60, 0x7fffffff, v81, v60
	s_delay_alu instid0(VALU_DEP_1) | instskip(SKIP_1) | instid1(VALU_DEP_2)
	v_cndmask_b32_e32 v61, 0x7ff80000, v60, vcc_lo
	v_cmp_u_f64_e32 vcc_lo, v[56:57], v[56:57]
	v_cndmask_b32_e64 v60, v60, v61, s44
	v_cndmask_b32_e64 v61, 0, v57, s0
	s_mov_b32 s0, 0x45a1cac1
	s_mov_b32 s1, 0x401033b6
	s_delay_alu instid0(SALU_CYCLE_1) | instskip(NEXT) | instid1(VALU_DEP_2)
	v_div_fixup_f64 v[62:63], v[70:71], v[68:69], s[0:1]
	v_bfi_b32 v61, 0x7fffffff, v78, v61
	s_mov_b32 s0, 0xc84b5dcc
	s_mov_b32 s1, 0xbffe3d07
	s_delay_alu instid0(VALU_DEP_1) | instskip(SKIP_1) | instid1(VALU_DEP_1)
	v_cndmask_b32_e64 v61, v60, v61, s46
	v_cndmask_b32_e64 v60, v27, 0, s46
	v_mul_f64 v[60:61], v[60:61], s[0:1]
	s_mov_b32 s0, 0x652b82fe
	s_mov_b32 s1, 0x3ff71547
	s_delay_alu instid0(VALU_DEP_1) | instskip(NEXT) | instid1(VALU_DEP_2)
	v_cndmask_b32_e64 v57, v61, 0x7ff80000, vcc_lo
	v_cndmask_b32_e64 v56, v60, 0, vcc_lo
	;; [unrolled: 1-line block ×4, first 2 shown]
	v_add_f64 v[62:63], v[72:73], 1.0
	s_delay_alu instid0(VALU_DEP_4) | instskip(SKIP_2) | instid1(VALU_DEP_2)
	v_mul_f64 v[64:65], v[56:57], s[0:1]
	s_mov_b32 s0, 0xfca7ab0c
	s_mov_b32 s1, 0x3e928af3
	v_cndmask_b32_e64 v63, v63, 0x7ff80000, vcc_lo
	s_delay_alu instid0(VALU_DEP_3) | instskip(NEXT) | instid1(VALU_DEP_3)
	v_cndmask_b32_e64 v62, v62, 0, vcc_lo
	v_rndne_f64_e32 v[64:65], v[64:65]
	v_cmp_nlt_f64_e32 vcc_lo, 0x40900000, v[56:57]
	s_delay_alu instid0(VALU_DEP_2) | instskip(SKIP_1) | instid1(VALU_DEP_2)
	v_fma_f64 v[68:69], v[64:65], s[64:65], v[56:57]
	v_cvt_i32_f64_e32 v27, v[64:65]
	v_fma_f64 v[68:69], v[64:65], s[70:71], v[68:69]
	s_delay_alu instid0(VALU_DEP_1) | instskip(SKIP_3) | instid1(VALU_DEP_1)
	v_fma_f64 v[70:71], v[68:69], s[88:89], s[0:1]
	s_mov_b32 s0, 0x623fde64
	s_mov_b32 s1, 0x3ec71dee
	s_mov_b64 s[88:89], s[2:3]
	v_fma_f64 v[70:71], v[68:69], v[70:71], s[0:1]
	s_mov_b32 s0, 0x7c89e6b0
	s_mov_b32 s1, 0x3efa0199
	s_delay_alu instid0(VALU_DEP_1) | instid1(SALU_CYCLE_1)
	v_fma_f64 v[70:71], v[68:69], v[70:71], s[0:1]
	v_cmp_ngt_f64_e64 s0, 0xc090cc00, v[56:57]
	s_delay_alu instid0(VALU_DEP_2) | instskip(NEXT) | instid1(VALU_DEP_1)
	v_fma_f64 v[70:71], v[68:69], v[70:71], s[24:25]
	v_fma_f64 v[70:71], v[68:69], v[70:71], s[86:87]
	s_delay_alu instid0(VALU_DEP_1) | instskip(NEXT) | instid1(VALU_DEP_1)
	v_fma_f64 v[70:71], v[68:69], v[70:71], s[2:3]
	v_fma_f64 v[70:71], v[68:69], v[70:71], s[40:41]
	s_delay_alu instid0(VALU_DEP_1) | instskip(SKIP_2) | instid1(VALU_DEP_1)
	v_fma_f64 v[70:71], v[68:69], v[70:71], s[4:5]
	s_mov_b32 s4, 11
	s_mov_b32 s5, 0x3fe00000
	v_fma_f64 v[70:71], v[68:69], v[70:71], s[72:73]
	s_mov_b32 s72, 0x55555511
	s_mov_b32 s73, 0x3fc55555
	s_delay_alu instid0(VALU_DEP_1) | instskip(NEXT) | instid1(VALU_DEP_1)
	v_fma_f64 v[70:71], v[68:69], v[70:71], 1.0
	v_fma_f64 v[68:69], v[68:69], v[70:71], 1.0
	s_delay_alu instid0(VALU_DEP_1) | instskip(NEXT) | instid1(VALU_DEP_1)
	v_ldexp_f64 v[64:65], v[68:69], v27
	v_cndmask_b32_e32 v27, 0x7ff00000, v65, vcc_lo
	s_and_b32 vcc_lo, s0, vcc_lo
	s_delay_alu instid0(VALU_DEP_2) | instskip(NEXT) | instid1(VALU_DEP_2)
	v_cndmask_b32_e32 v56, 0, v64, vcc_lo
	v_cndmask_b32_e64 v57, 0, v27, s0
	s_mov_b32 s0, 0xd1b717
	s_mov_b32 s1, 0x3fe102de
	s_delay_alu instid0(SALU_CYCLE_1) | instskip(SKIP_2) | instid1(SALU_CYCLE_1)
	v_div_fixup_f64 v[64:65], v[76:77], v[74:75], s[0:1]
	s_mov_b32 s0, 0xf3a00000
	s_mov_b32 s1, 0x421beb9b
	v_div_fixup_f64 v[52:53], v[54:55], s[0:1], v[52:53]
	v_readlane_b32 s0, v184, 24
	v_readlane_b32 s1, v184, 25
	s_delay_alu instid0(VALU_DEP_1)
	s_mov_b32 s3, s1
	s_mov_b32 s0, 0x652b82fe
	;; [unrolled: 1-line block ×5, first 2 shown]
	v_writelane_b32 v184, s0, 24
	v_writelane_b32 v184, s1, 25
	s_mov_b64 s[0:1], s[88:89]
	v_add_f64 v[62:63], v[64:65], v[62:63]
	s_delay_alu instid0(VALU_DEP_1) | instskip(NEXT) | instid1(VALU_DEP_1)
	v_mul_f64 v[60:61], v[60:61], v[62:63]
	v_mul_f64 v[54:55], v[60:61], v[56:57]
	s_delay_alu instid0(VALU_DEP_1) | instskip(NEXT) | instid1(VALU_DEP_1)
	v_mul_f64 v[52:53], v[54:55], v[52:53]
	v_mul_f64 v[44:45], v[44:45], v[52:53]
	v_div_fixup_f64 v[52:53], v[79:80], v[66:67], v[58:59]
	s_delay_alu instid0(VALU_DEP_1) | instskip(NEXT) | instid1(VALU_DEP_1)
	v_div_scale_f64 v[54:55], null, v[52:53], v[52:53], v[44:45]
	v_rcp_f64_e32 v[56:57], v[54:55]
	s_waitcnt_depctr 0xfff
	v_fma_f64 v[58:59], -v[54:55], v[56:57], 1.0
	s_delay_alu instid0(VALU_DEP_1) | instskip(NEXT) | instid1(VALU_DEP_1)
	v_fma_f64 v[56:57], v[56:57], v[58:59], v[56:57]
	v_fma_f64 v[58:59], -v[54:55], v[56:57], 1.0
	s_delay_alu instid0(VALU_DEP_1) | instskip(SKIP_1) | instid1(VALU_DEP_1)
	v_fma_f64 v[56:57], v[56:57], v[58:59], v[56:57]
	v_div_scale_f64 v[58:59], vcc_lo, v[44:45], v[52:53], v[44:45]
	v_mul_f64 v[60:61], v[58:59], v[56:57]
	s_delay_alu instid0(VALU_DEP_1) | instskip(NEXT) | instid1(VALU_DEP_1)
	v_fma_f64 v[54:55], -v[54:55], v[60:61], v[58:59]
	v_div_fmas_f64 v[54:55], v[54:55], v[56:57], v[60:61]
	s_delay_alu instid0(VALU_DEP_1) | instskip(NEXT) | instid1(VALU_DEP_1)
	v_div_fixup_f64 v[52:53], v[54:55], v[52:53], v[44:45]
	v_fma_f64 v[40:41], -v[48:49], v[52:53], v[40:41]
	s_delay_alu instid0(VALU_DEP_1) | instskip(SKIP_3) | instid1(VALU_DEP_2)
	v_mul_f64 v[52:53], v[40:41], s[2:3]
	s_mov_b32 s2, 0xfca7ab0c
	s_mov_b32 s3, 0x3e928af3
	v_cmp_ngt_f64_e32 vcc_lo, 0xc0900000, v[40:41]
	v_rndne_f64_e32 v[52:53], v[52:53]
	s_delay_alu instid0(VALU_DEP_1) | instskip(SKIP_3) | instid1(VALU_DEP_2)
	v_fma_f64 v[54:55], v[52:53], s[64:65], -v[40:41]
	s_mov_b32 s64, 0x6a5dcb37
	s_mov_b32 s65, 0x3e5ade15
	v_cvt_i32_f64_e32 v27, v[52:53]
	v_fma_f64 v[54:55], v[52:53], s[70:71], v[54:55]
	s_delay_alu instid0(VALU_DEP_1) | instskip(SKIP_3) | instid1(VALU_DEP_1)
	v_fma_f64 v[56:57], v[54:55], s[64:65], s[2:3]
	s_mov_b32 s2, 0x623fde64
	s_mov_b32 s3, 0x3ec71dee
	s_mov_b64 s[64:65], s[40:41]
	v_fma_f64 v[52:53], v[54:55], v[56:57], s[2:3]
	s_mov_b32 s2, 0x7c89e6b0
	s_mov_b32 s3, 0x3efa0199
	s_delay_alu instid0(VALU_DEP_1) | instid1(SALU_CYCLE_1)
	v_fma_f64 v[52:53], v[54:55], v[52:53], s[2:3]
	s_delay_alu instid0(VALU_DEP_1) | instskip(NEXT) | instid1(VALU_DEP_1)
	v_fma_f64 v[52:53], v[54:55], v[52:53], s[24:25]
	v_fma_f64 v[52:53], v[54:55], v[52:53], s[86:87]
	s_mov_b32 s87, s71
	s_delay_alu instid0(VALU_DEP_1) | instskip(SKIP_1) | instid1(VALU_DEP_2)
	v_fma_f64 v[52:53], v[54:55], v[52:53], s[0:1]
	v_cmp_nlt_f64_e64 s0, 0x4090cc00, v[40:41]
	v_fma_f64 v[52:53], v[54:55], v[52:53], s[64:65]
	s_delay_alu instid0(VALU_DEP_1) | instskip(NEXT) | instid1(VALU_DEP_1)
	v_fma_f64 v[52:53], v[54:55], v[52:53], s[72:73]
	v_fma_f64 v[52:53], v[54:55], v[52:53], s[4:5]
	s_delay_alu instid0(VALU_DEP_1) | instskip(NEXT) | instid1(VALU_DEP_1)
	v_fma_f64 v[52:53], v[54:55], v[52:53], 1.0
	v_fma_f64 v[52:53], v[54:55], v[52:53], 1.0
	v_div_scale_f64 v[54:55], null, v[50:51], v[50:51], v[44:45]
	s_delay_alu instid0(VALU_DEP_2) | instskip(NEXT) | instid1(VALU_DEP_2)
	v_ldexp_f64 v[52:53], v[52:53], v27
	v_rcp_f64_e32 v[56:57], v[54:55]
	s_delay_alu instid0(VALU_DEP_1) | instskip(SKIP_4) | instid1(SALU_CYCLE_1)
	v_cndmask_b32_e32 v27, 0x7ff00000, v53, vcc_lo
	s_waitcnt_depctr 0xfff
	v_fma_f64 v[58:59], -v[54:55], v[56:57], 1.0
	v_cndmask_b32_e64 v53, 0, v27, s0
	s_and_b32 s0, s0, vcc_lo
	v_cndmask_b32_e64 v52, 0, v52, s0
	s_xor_b32 s0, exec_lo, -1
	s_delay_alu instid0(VALU_DEP_3) | instskip(NEXT) | instid1(VALU_DEP_1)
	v_fma_f64 v[56:57], v[56:57], v[58:59], v[56:57]
	v_fma_f64 v[58:59], -v[54:55], v[56:57], 1.0
	s_delay_alu instid0(VALU_DEP_1) | instskip(SKIP_1) | instid1(VALU_DEP_1)
	v_fma_f64 v[56:57], v[56:57], v[58:59], v[56:57]
	v_div_scale_f64 v[58:59], vcc_lo, v[44:45], v[50:51], v[44:45]
	v_mul_f64 v[60:61], v[58:59], v[56:57]
	s_delay_alu instid0(VALU_DEP_1) | instskip(NEXT) | instid1(VALU_DEP_1)
	v_fma_f64 v[54:55], -v[54:55], v[60:61], v[58:59]
	v_div_fmas_f64 v[54:55], v[54:55], v[56:57], v[60:61]
	s_delay_alu instid0(VALU_DEP_1) | instskip(NEXT) | instid1(VALU_DEP_1)
	v_div_fixup_f64 v[44:45], v[54:55], v[50:51], v[44:45]
	v_div_scale_f64 v[54:55], null, v[50:51], v[50:51], v[44:45]
	s_delay_alu instid0(VALU_DEP_1) | instskip(SKIP_2) | instid1(VALU_DEP_1)
	v_rcp_f64_e32 v[56:57], v[54:55]
	s_waitcnt_depctr 0xfff
	v_fma_f64 v[58:59], -v[54:55], v[56:57], 1.0
	v_fma_f64 v[56:57], v[56:57], v[58:59], v[56:57]
	s_delay_alu instid0(VALU_DEP_1) | instskip(NEXT) | instid1(VALU_DEP_1)
	v_fma_f64 v[58:59], -v[54:55], v[56:57], 1.0
	v_fma_f64 v[56:57], v[56:57], v[58:59], v[56:57]
	v_div_scale_f64 v[58:59], vcc_lo, v[44:45], v[50:51], v[44:45]
	s_delay_alu instid0(VALU_DEP_1) | instskip(NEXT) | instid1(VALU_DEP_1)
	v_mul_f64 v[60:61], v[58:59], v[56:57]
	v_fma_f64 v[54:55], -v[54:55], v[60:61], v[58:59]
	s_delay_alu instid0(VALU_DEP_1) | instskip(NEXT) | instid1(VALU_DEP_1)
	v_div_fmas_f64 v[54:55], v[54:55], v[56:57], v[60:61]
	v_div_fixup_f64 v[44:45], v[54:55], v[50:51], v[44:45]
	s_delay_alu instid0(VALU_DEP_1) | instskip(NEXT) | instid1(VALU_DEP_1)
	v_div_scale_f64 v[54:55], null, v[50:51], v[50:51], v[44:45]
	v_rcp_f64_e32 v[56:57], v[54:55]
	s_waitcnt_depctr 0xfff
	v_fma_f64 v[58:59], -v[54:55], v[56:57], 1.0
	s_delay_alu instid0(VALU_DEP_1) | instskip(NEXT) | instid1(VALU_DEP_1)
	v_fma_f64 v[56:57], v[56:57], v[58:59], v[56:57]
	v_fma_f64 v[58:59], -v[54:55], v[56:57], 1.0
	s_delay_alu instid0(VALU_DEP_1) | instskip(SKIP_1) | instid1(VALU_DEP_1)
	v_fma_f64 v[56:57], v[56:57], v[58:59], v[56:57]
	v_div_scale_f64 v[58:59], vcc_lo, v[44:45], v[50:51], v[44:45]
	v_mul_f64 v[60:61], v[58:59], v[56:57]
	s_delay_alu instid0(VALU_DEP_1) | instskip(NEXT) | instid1(VALU_DEP_1)
	v_fma_f64 v[54:55], -v[54:55], v[60:61], v[58:59]
	v_div_fmas_f64 v[54:55], v[54:55], v[56:57], v[60:61]
	s_delay_alu instid0(VALU_DEP_1) | instskip(NEXT) | instid1(VALU_DEP_1)
	v_div_fixup_f64 v[44:45], v[54:55], v[50:51], v[44:45]
	v_mul_f64 v[44:45], v[44:45], v[52:53]
	s_delay_alu instid0(VALU_DEP_1)
	v_fma_f64 v[48:49], -v[48:49], v[44:45], v[42:43]
.LBB1_78:                               ;   in Loop: Header=BB1_79 Depth=1
	s_or_b32 exec_lo, exec_lo, s33
	v_readlane_b32 s2, v184, 4
	s_and_b32 s0, exec_lo, s0
	v_readlane_b32 s3, v184, 5
	s_delay_alu instid0(VALU_DEP_2) | instskip(NEXT) | instid1(SALU_CYCLE_1)
	s_or_b32 s2, s0, s2
	s_mov_b32 s0, s2
	s_delay_alu instid0(SALU_CYCLE_1)
	v_writelane_b32 v184, s0, 4
	v_writelane_b32 v184, s1, 5
	s_and_not1_b32 exec_lo, exec_lo, s2
	s_cbranch_execz .LBB1_174
.LBB1_79:                               ; =>This Loop Header: Depth=1
                                        ;     Child Loop BB1_81 Depth 2
                                        ;       Child Loop BB1_93 Depth 3
	s_delay_alu instid0(VALU_DEP_3)
	v_dual_mov_b32 v42, v48 :: v_dual_mov_b32 v43, v49
	s_mov_b32 s3, 0
                                        ; implicit-def: $sgpr2
	s_branch .LBB1_81
.LBB1_80:                               ;   in Loop: Header=BB1_81 Depth=2
	s_or_b32 exec_lo, exec_lo, s0
	s_xor_b32 s0, s4, -1
	s_and_b32 s1, exec_lo, s1
	s_delay_alu instid0(SALU_CYCLE_1) | instskip(SKIP_2) | instid1(SALU_CYCLE_1)
	s_or_b32 s3, s1, s3
	s_and_not1_b32 s1, s2, exec_lo
	s_and_b32 s0, s0, exec_lo
	s_or_b32 s2, s1, s0
	s_and_not1_b32 exec_lo, exec_lo, s3
	s_cbranch_execz .LBB1_147
.LBB1_81:                               ;   Parent Loop BB1_79 Depth=1
                                        ; =>  This Loop Header: Depth=2
                                        ;       Child Loop BB1_93 Depth 3
	v_cmp_ngt_f64_e64 s0, 0x41d00000, |v[4:5]|
	v_trig_preop_f64 v[54:55], |v[4:5]|, 0
	v_trig_preop_f64 v[50:51], |v[4:5]|, 1
	v_ldexp_f64 v[56:57], |v[4:5]|, 0xffffff80
	v_trig_preop_f64 v[52:53], |v[4:5]|, 2
	v_dual_mov_b32 v44, v46 :: v_dual_mov_b32 v45, v47
	v_and_b32_e32 v63, 0x7fffffff, v5
                                        ; implicit-def: $vgpr62
                                        ; implicit-def: $vgpr46_vgpr47
                                        ; implicit-def: $vgpr48_vgpr49
	s_and_saveexec_b32 s1, s0
	s_delay_alu instid0(SALU_CYCLE_1)
	s_xor_b32 s1, exec_lo, s1
	s_cbranch_execz .LBB1_83
; %bb.82:                               ;   in Loop: Header=BB1_81 Depth=2
	v_cmp_le_f64_e64 vcc_lo, 0x7b000000, |v[4:5]|
	s_mov_b32 s94, s96
	s_mov_b32 s101, s99
	v_dual_cndmask_b32 v47, v63, v57 :: v_dual_cndmask_b32 v46, v4, v56
	s_delay_alu instid0(VALU_DEP_1) | instskip(SKIP_1) | instid1(VALU_DEP_2)
	v_mul_f64 v[48:49], v[54:55], v[46:47]
	v_mul_f64 v[58:59], v[50:51], v[46:47]
	v_fma_f64 v[60:61], v[54:55], v[46:47], -v[48:49]
	s_delay_alu instid0(VALU_DEP_1) | instskip(NEXT) | instid1(VALU_DEP_1)
	v_add_f64 v[64:65], v[58:59], v[60:61]
	v_add_f64 v[66:67], v[64:65], -v[58:59]
	s_delay_alu instid0(VALU_DEP_1) | instskip(SKIP_1) | instid1(VALU_DEP_1)
	v_add_f64 v[60:61], v[60:61], -v[66:67]
	v_add_f64 v[66:67], v[64:65], -v[66:67]
	v_add_f64 v[66:67], v[58:59], -v[66:67]
	v_fma_f64 v[58:59], v[50:51], v[46:47], -v[58:59]
	s_delay_alu instid0(VALU_DEP_2) | instskip(SKIP_1) | instid1(VALU_DEP_1)
	v_add_f64 v[60:61], v[60:61], v[66:67]
	v_mul_f64 v[66:67], v[52:53], v[46:47]
	v_add_f64 v[68:69], v[66:67], v[58:59]
	v_fma_f64 v[46:47], v[52:53], v[46:47], -v[66:67]
	s_delay_alu instid0(VALU_DEP_2) | instskip(NEXT) | instid1(VALU_DEP_1)
	v_add_f64 v[70:71], v[68:69], -v[66:67]
	v_add_f64 v[58:59], v[58:59], -v[70:71]
	;; [unrolled: 1-line block ×3, first 2 shown]
	s_delay_alu instid0(VALU_DEP_1) | instskip(NEXT) | instid1(VALU_DEP_1)
	v_add_f64 v[70:71], v[66:67], -v[70:71]
	v_add_f64 v[58:59], v[58:59], v[70:71]
	v_add_f64 v[70:71], v[68:69], v[60:61]
	s_delay_alu instid0(VALU_DEP_1) | instskip(NEXT) | instid1(VALU_DEP_1)
	v_add_f64 v[72:73], v[70:71], -v[68:69]
	v_add_f64 v[60:61], v[60:61], -v[72:73]
	;; [unrolled: 1-line block ×3, first 2 shown]
	s_delay_alu instid0(VALU_DEP_1) | instskip(SKIP_1) | instid1(VALU_DEP_2)
	v_add_f64 v[68:69], v[68:69], -v[72:73]
	v_add_f64 v[72:73], v[48:49], v[64:65]
	v_add_f64 v[60:61], v[60:61], v[68:69]
	s_delay_alu instid0(VALU_DEP_2) | instskip(SKIP_1) | instid1(VALU_DEP_3)
	v_add_f64 v[48:49], v[72:73], -v[48:49]
	v_ldexp_f64 v[72:73], v[72:73], -2
	v_add_f64 v[58:59], v[58:59], v[60:61]
	s_delay_alu instid0(VALU_DEP_3) | instskip(NEXT) | instid1(VALU_DEP_3)
	v_add_f64 v[48:49], v[64:65], -v[48:49]
	v_fract_f64_e32 v[74:75], v[72:73]
	v_cmp_neq_f64_e64 vcc_lo, 0x7ff00000, |v[72:73]|
	s_delay_alu instid0(VALU_DEP_4) | instskip(NEXT) | instid1(VALU_DEP_4)
	v_add_f64 v[46:47], v[46:47], v[58:59]
	v_add_f64 v[60:61], v[48:49], v[70:71]
	s_delay_alu instid0(VALU_DEP_4) | instskip(NEXT) | instid1(VALU_DEP_1)
	v_dual_cndmask_b32 v65, 0, v75 :: v_dual_cndmask_b32 v64, 0, v74
	v_ldexp_f64 v[58:59], v[64:65], 2
	s_delay_alu instid0(VALU_DEP_3) | instskip(NEXT) | instid1(VALU_DEP_2)
	v_add_f64 v[48:49], v[60:61], -v[48:49]
	v_add_f64 v[64:65], v[60:61], v[58:59]
	s_delay_alu instid0(VALU_DEP_2) | instskip(NEXT) | instid1(VALU_DEP_2)
	v_add_f64 v[48:49], v[70:71], -v[48:49]
	v_cmp_gt_f64_e32 vcc_lo, 0, v[64:65]
	s_delay_alu instid0(VALU_DEP_2) | instskip(SKIP_1) | instid1(VALU_DEP_1)
	v_add_f64 v[46:47], v[48:49], v[46:47]
	v_cndmask_b32_e64 v27, 0, 0x40100000, vcc_lo
	v_add_f64 v[58:59], v[58:59], v[26:27]
	s_delay_alu instid0(VALU_DEP_1) | instskip(NEXT) | instid1(VALU_DEP_1)
	v_add_f64 v[64:65], v[60:61], v[58:59]
	v_cvt_i32_f64_e32 v62, v[64:65]
	s_delay_alu instid0(VALU_DEP_1) | instskip(NEXT) | instid1(VALU_DEP_1)
	v_cvt_f64_i32_e32 v[64:65], v62
	v_add_f64 v[58:59], v[58:59], -v[64:65]
	s_delay_alu instid0(VALU_DEP_1) | instskip(NEXT) | instid1(VALU_DEP_1)
	v_add_f64 v[48:49], v[60:61], v[58:59]
	v_add_f64 v[58:59], v[48:49], -v[58:59]
	v_cmp_le_f64_e32 vcc_lo, 0.5, v[48:49]
	s_delay_alu instid0(VALU_DEP_2) | instskip(SKIP_2) | instid1(VALU_DEP_2)
	v_add_f64 v[58:59], v[60:61], -v[58:59]
	v_cndmask_b32_e64 v27, 0, 0x3ff00000, vcc_lo
	v_add_co_ci_u32_e32 v62, vcc_lo, 0, v62, vcc_lo
	v_add_f64 v[48:49], v[48:49], -v[26:27]
	s_delay_alu instid0(VALU_DEP_4) | instskip(NEXT) | instid1(VALU_DEP_1)
	v_add_f64 v[46:47], v[46:47], v[58:59]
	v_add_f64 v[58:59], v[48:49], v[46:47]
	s_delay_alu instid0(VALU_DEP_1) | instskip(NEXT) | instid1(VALU_DEP_1)
	v_add_f64 v[48:49], v[58:59], -v[48:49]
	v_add_f64 v[46:47], v[46:47], -v[48:49]
	v_mul_f64 v[48:49], v[58:59], s[94:95]
	s_delay_alu instid0(VALU_DEP_1) | instskip(NEXT) | instid1(VALU_DEP_1)
	v_fma_f64 v[60:61], v[58:59], s[94:95], -v[48:49]
	v_fma_f64 v[58:59], v[58:59], s[100:101], v[60:61]
	s_delay_alu instid0(VALU_DEP_1) | instskip(NEXT) | instid1(VALU_DEP_1)
	v_fma_f64 v[58:59], v[46:47], s[94:95], v[58:59]
	v_add_f64 v[46:47], v[48:49], v[58:59]
	s_delay_alu instid0(VALU_DEP_1) | instskip(NEXT) | instid1(VALU_DEP_1)
	v_add_f64 v[48:49], v[46:47], -v[48:49]
	v_add_f64 v[48:49], v[58:59], -v[48:49]
	s_and_not1_saveexec_b32 s1, s1
	s_cbranch_execz .LBB1_85
	s_branch .LBB1_84
.LBB1_83:                               ;   in Loop: Header=BB1_81 Depth=2
	s_and_not1_saveexec_b32 s1, s1
	s_cbranch_execz .LBB1_85
.LBB1_84:                               ;   in Loop: Header=BB1_81 Depth=2
	v_mul_f64 v[46:47], |v[4:5]|, s[102:103]
	s_mov_b32 s98, s10
	s_delay_alu instid0(VALU_DEP_1) | instskip(NEXT) | instid1(VALU_DEP_1)
	v_rndne_f64_e32 v[58:59], v[46:47]
	v_fma_f64 v[46:47], v[58:59], s[96:97], |v[4:5]|
	v_mul_f64 v[48:49], v[58:59], s[10:11]
	v_cvt_i32_f64_e32 v62, v[58:59]
	s_delay_alu instid0(VALU_DEP_3) | instskip(NEXT) | instid1(VALU_DEP_3)
	v_fma_f64 v[64:65], v[58:59], s[10:11], v[46:47]
	v_add_f64 v[60:61], v[46:47], v[48:49]
	s_delay_alu instid0(VALU_DEP_1) | instskip(NEXT) | instid1(VALU_DEP_3)
	v_add_f64 v[46:47], v[46:47], -v[60:61]
	v_add_f64 v[60:61], v[60:61], -v[64:65]
	s_delay_alu instid0(VALU_DEP_2) | instskip(SKIP_1) | instid1(VALU_DEP_2)
	v_add_f64 v[46:47], v[46:47], v[48:49]
	v_fma_f64 v[48:49], v[58:59], s[98:99], v[48:49]
	v_add_f64 v[46:47], v[60:61], v[46:47]
	s_delay_alu instid0(VALU_DEP_1) | instskip(NEXT) | instid1(VALU_DEP_1)
	v_add_f64 v[46:47], v[46:47], -v[48:49]
	v_fma_f64 v[48:49], v[58:59], s[6:7], v[46:47]
	s_delay_alu instid0(VALU_DEP_1) | instskip(NEXT) | instid1(VALU_DEP_1)
	v_add_f64 v[46:47], v[64:65], v[48:49]
	v_add_f64 v[60:61], v[46:47], -v[64:65]
	s_delay_alu instid0(VALU_DEP_1)
	v_add_f64 v[48:49], v[48:49], -v[60:61]
.LBB1_85:                               ;   in Loop: Header=BB1_81 Depth=2
	s_or_b32 exec_lo, exec_lo, s1
                                        ; implicit-def: $vgpr27
                                        ; implicit-def: $vgpr58_vgpr59
                                        ; implicit-def: $vgpr60_vgpr61
	s_and_saveexec_b32 s1, s0
	s_delay_alu instid0(SALU_CYCLE_1)
	s_xor_b32 s0, exec_lo, s1
	s_cbranch_execz .LBB1_87
; %bb.86:                               ;   in Loop: Header=BB1_81 Depth=2
	v_cmp_le_f64_e64 vcc_lo, 0x7b000000, |v[4:5]|
	s_mov_b32 s94, s96
	s_mov_b32 s101, s99
	v_dual_cndmask_b32 v57, v63, v57 :: v_dual_cndmask_b32 v56, v4, v56
	s_delay_alu instid0(VALU_DEP_1) | instskip(SKIP_2) | instid1(VALU_DEP_3)
	v_mul_f64 v[58:59], v[54:55], v[56:57]
	v_mul_f64 v[60:61], v[50:51], v[56:57]
	;; [unrolled: 1-line block ×3, first 2 shown]
	v_fma_f64 v[54:55], v[54:55], v[56:57], -v[58:59]
	s_delay_alu instid0(VALU_DEP_3) | instskip(NEXT) | instid1(VALU_DEP_3)
	v_fma_f64 v[50:51], v[50:51], v[56:57], -v[60:61]
	v_fma_f64 v[52:53], v[52:53], v[56:57], -v[63:64]
	s_delay_alu instid0(VALU_DEP_3) | instskip(NEXT) | instid1(VALU_DEP_1)
	v_add_f64 v[65:66], v[60:61], v[54:55]
	v_add_f64 v[56:57], v[65:66], -v[60:61]
	s_delay_alu instid0(VALU_DEP_1) | instskip(SKIP_1) | instid1(VALU_DEP_1)
	v_add_f64 v[54:55], v[54:55], -v[56:57]
	v_add_f64 v[56:57], v[65:66], -v[56:57]
	;; [unrolled: 1-line block ×3, first 2 shown]
	v_add_f64 v[60:61], v[58:59], v[65:66]
	s_delay_alu instid0(VALU_DEP_2) | instskip(NEXT) | instid1(VALU_DEP_2)
	v_add_f64 v[54:55], v[54:55], v[56:57]
	v_add_f64 v[58:59], v[60:61], -v[58:59]
	v_ldexp_f64 v[60:61], v[60:61], -2
	s_delay_alu instid0(VALU_DEP_2) | instskip(SKIP_1) | instid1(VALU_DEP_3)
	v_add_f64 v[58:59], v[65:66], -v[58:59]
	v_add_f64 v[65:66], v[63:64], v[50:51]
	v_fract_f64_e32 v[56:57], v[60:61]
	v_cmp_neq_f64_e64 vcc_lo, 0x7ff00000, |v[60:61]|
	s_delay_alu instid0(VALU_DEP_3) | instskip(NEXT) | instid1(VALU_DEP_3)
	v_add_f64 v[60:61], v[65:66], -v[63:64]
	v_dual_cndmask_b32 v57, 0, v57 :: v_dual_cndmask_b32 v56, 0, v56
	s_delay_alu instid0(VALU_DEP_1) | instskip(NEXT) | instid1(VALU_DEP_3)
	v_ldexp_f64 v[56:57], v[56:57], 2
	v_add_f64 v[50:51], v[50:51], -v[60:61]
	v_add_f64 v[60:61], v[65:66], -v[60:61]
	s_delay_alu instid0(VALU_DEP_1) | instskip(SKIP_1) | instid1(VALU_DEP_2)
	v_add_f64 v[60:61], v[63:64], -v[60:61]
	v_add_f64 v[63:64], v[65:66], v[54:55]
	v_add_f64 v[50:51], v[50:51], v[60:61]
	s_delay_alu instid0(VALU_DEP_2) | instskip(NEXT) | instid1(VALU_DEP_1)
	v_add_f64 v[60:61], v[63:64], -v[65:66]
	v_add_f64 v[54:55], v[54:55], -v[60:61]
	;; [unrolled: 1-line block ×3, first 2 shown]
	s_delay_alu instid0(VALU_DEP_1) | instskip(SKIP_1) | instid1(VALU_DEP_2)
	v_add_f64 v[60:61], v[65:66], -v[60:61]
	v_add_f64 v[65:66], v[58:59], v[63:64]
	v_add_f64 v[54:55], v[54:55], v[60:61]
	s_delay_alu instid0(VALU_DEP_2) | instskip(SKIP_1) | instid1(VALU_DEP_3)
	v_add_f64 v[67:68], v[65:66], v[56:57]
	v_add_f64 v[58:59], v[65:66], -v[58:59]
	v_add_f64 v[50:51], v[50:51], v[54:55]
	s_delay_alu instid0(VALU_DEP_3) | instskip(NEXT) | instid1(VALU_DEP_3)
	v_cmp_gt_f64_e32 vcc_lo, 0, v[67:68]
	v_add_f64 v[58:59], v[63:64], -v[58:59]
	s_delay_alu instid0(VALU_DEP_3) | instskip(SKIP_1) | instid1(VALU_DEP_1)
	v_add_f64 v[50:51], v[52:53], v[50:51]
	v_cndmask_b32_e64 v27, 0, 0x40100000, vcc_lo
	v_add_f64 v[56:57], v[56:57], v[26:27]
	s_delay_alu instid0(VALU_DEP_3) | instskip(NEXT) | instid1(VALU_DEP_2)
	v_add_f64 v[50:51], v[58:59], v[50:51]
	v_add_f64 v[60:61], v[65:66], v[56:57]
	s_delay_alu instid0(VALU_DEP_1) | instskip(NEXT) | instid1(VALU_DEP_1)
	v_cvt_i32_f64_e32 v67, v[60:61]
	v_cvt_f64_i32_e32 v[60:61], v67
	s_delay_alu instid0(VALU_DEP_1) | instskip(NEXT) | instid1(VALU_DEP_1)
	v_add_f64 v[56:57], v[56:57], -v[60:61]
	v_add_f64 v[54:55], v[65:66], v[56:57]
	s_delay_alu instid0(VALU_DEP_1) | instskip(SKIP_1) | instid1(VALU_DEP_2)
	v_add_f64 v[52:53], v[54:55], -v[56:57]
	v_cmp_le_f64_e32 vcc_lo, 0.5, v[54:55]
	v_add_f64 v[52:53], v[65:66], -v[52:53]
	v_cndmask_b32_e64 v27, 0, 0x3ff00000, vcc_lo
	s_delay_alu instid0(VALU_DEP_1) | instskip(SKIP_1) | instid1(VALU_DEP_4)
	v_add_f64 v[54:55], v[54:55], -v[26:27]
	v_add_co_ci_u32_e32 v27, vcc_lo, 0, v67, vcc_lo
	v_add_f64 v[50:51], v[50:51], v[52:53]
	s_delay_alu instid0(VALU_DEP_1) | instskip(NEXT) | instid1(VALU_DEP_1)
	v_add_f64 v[52:53], v[54:55], v[50:51]
	v_mul_f64 v[56:57], v[52:53], s[94:95]
	v_add_f64 v[54:55], v[52:53], -v[54:55]
	s_delay_alu instid0(VALU_DEP_2) | instskip(NEXT) | instid1(VALU_DEP_2)
	v_fma_f64 v[58:59], v[52:53], s[94:95], -v[56:57]
	v_add_f64 v[50:51], v[50:51], -v[54:55]
	s_delay_alu instid0(VALU_DEP_2) | instskip(NEXT) | instid1(VALU_DEP_1)
	v_fma_f64 v[52:53], v[52:53], s[100:101], v[58:59]
	v_fma_f64 v[50:51], v[50:51], s[94:95], v[52:53]
	s_delay_alu instid0(VALU_DEP_1) | instskip(NEXT) | instid1(VALU_DEP_1)
	v_add_f64 v[58:59], v[56:57], v[50:51]
	v_add_f64 v[52:53], v[58:59], -v[56:57]
	s_delay_alu instid0(VALU_DEP_1)
	v_add_f64 v[60:61], v[50:51], -v[52:53]
	s_and_not1_saveexec_b32 s0, s0
	s_cbranch_execnz .LBB1_88
	s_branch .LBB1_89
.LBB1_87:                               ;   in Loop: Header=BB1_81 Depth=2
	s_and_not1_saveexec_b32 s0, s0
	s_cbranch_execz .LBB1_89
.LBB1_88:                               ;   in Loop: Header=BB1_81 Depth=2
	v_mul_f64 v[50:51], |v[4:5]|, s[102:103]
	s_mov_b32 s98, s10
	s_delay_alu instid0(VALU_DEP_1) | instskip(NEXT) | instid1(VALU_DEP_1)
	v_rndne_f64_e32 v[50:51], v[50:51]
	v_fma_f64 v[52:53], v[50:51], s[96:97], |v[4:5]|
	v_mul_f64 v[54:55], v[50:51], s[10:11]
	v_cvt_i32_f64_e32 v27, v[50:51]
	s_delay_alu instid0(VALU_DEP_3) | instskip(NEXT) | instid1(VALU_DEP_3)
	v_fma_f64 v[60:61], v[50:51], s[10:11], v[52:53]
	v_add_f64 v[56:57], v[52:53], v[54:55]
	s_delay_alu instid0(VALU_DEP_1) | instskip(NEXT) | instid1(VALU_DEP_3)
	v_add_f64 v[52:53], v[52:53], -v[56:57]
	v_add_f64 v[56:57], v[56:57], -v[60:61]
	s_delay_alu instid0(VALU_DEP_2) | instskip(SKIP_1) | instid1(VALU_DEP_2)
	v_add_f64 v[52:53], v[52:53], v[54:55]
	v_fma_f64 v[54:55], v[50:51], s[98:99], v[54:55]
	v_add_f64 v[52:53], v[56:57], v[52:53]
	s_delay_alu instid0(VALU_DEP_1) | instskip(NEXT) | instid1(VALU_DEP_1)
	v_add_f64 v[52:53], v[52:53], -v[54:55]
	v_fma_f64 v[52:53], v[50:51], s[6:7], v[52:53]
	s_delay_alu instid0(VALU_DEP_1) | instskip(NEXT) | instid1(VALU_DEP_1)
	v_add_f64 v[58:59], v[60:61], v[52:53]
	v_add_f64 v[54:55], v[58:59], -v[60:61]
	s_delay_alu instid0(VALU_DEP_1)
	v_add_f64 v[60:61], v[52:53], -v[54:55]
.LBB1_89:                               ;   in Loop: Header=BB1_81 Depth=2
	s_or_b32 exec_lo, exec_lo, s0
	v_mul_f64 v[50:51], v[46:47], v[46:47]
	s_delay_alu instid0(VALU_DEP_2) | instskip(NEXT) | instid1(VALU_DEP_3)
	v_mul_f64 v[63:64], v[48:49], 0.5
	v_mul_f64 v[69:70], v[60:61], 0.5
	s_mov_b32 s38, s60
	v_cmp_class_f64_e64 s0, v[4:5], 0x1f8
	v_mov_b32_e32 v121, v45
	s_mov_b32 s4, 0
	v_mov_b32_e32 v120, v44
	v_mul_f64 v[52:53], v[50:51], 0.5
	v_mul_f64 v[65:66], v[46:47], -v[50:51]
	s_delay_alu instid0(VALU_DEP_2) | instskip(NEXT) | instid1(VALU_DEP_1)
	v_add_f64 v[54:55], -v[52:53], 1.0
	v_add_f64 v[56:57], -v[54:55], 1.0
	s_delay_alu instid0(VALU_DEP_1) | instskip(SKIP_1) | instid1(VALU_DEP_2)
	v_add_f64 v[52:53], v[56:57], -v[52:53]
	v_fma_f64 v[56:57], v[50:51], s[28:29], s[26:27]
	v_fma_f64 v[52:53], v[46:47], -v[48:49], v[52:53]
	s_delay_alu instid0(VALU_DEP_2) | instskip(NEXT) | instid1(VALU_DEP_1)
	v_fma_f64 v[56:57], v[50:51], v[56:57], s[30:31]
	v_fma_f64 v[56:57], v[50:51], v[56:57], s[34:35]
	s_delay_alu instid0(VALU_DEP_1) | instskip(NEXT) | instid1(VALU_DEP_1)
	v_fma_f64 v[56:57], v[50:51], v[56:57], s[36:37]
	v_fma_f64 v[56:57], v[65:66], v[56:57], v[63:64]
	s_delay_alu instid0(VALU_DEP_1) | instskip(SKIP_1) | instid1(VALU_DEP_2)
	v_fma_f64 v[48:49], v[50:51], v[56:57], -v[48:49]
	v_fma_f64 v[56:57], v[50:51], s[16:17], s[14:15]
	v_fma_f64 v[48:49], v[65:66], s[38:39], v[48:49]
	s_delay_alu instid0(VALU_DEP_2) | instskip(NEXT) | instid1(VALU_DEP_2)
	v_fma_f64 v[56:57], v[50:51], v[56:57], s[18:19]
	v_add_f64 v[46:47], v[46:47], -v[48:49]
	s_delay_alu instid0(VALU_DEP_2) | instskip(NEXT) | instid1(VALU_DEP_1)
	v_fma_f64 v[56:57], v[50:51], v[56:57], s[20:21]
	v_fma_f64 v[56:57], v[50:51], v[56:57], s[22:23]
	s_delay_alu instid0(VALU_DEP_1) | instskip(SKIP_1) | instid1(VALU_DEP_1)
	v_fma_f64 v[56:57], v[50:51], v[56:57], s[60:61]
	v_mul_f64 v[50:51], v[50:51], v[50:51]
	v_fma_f64 v[50:51], v[50:51], v[56:57], v[52:53]
	v_mul_f64 v[52:53], v[58:59], v[58:59]
	s_delay_alu instid0(VALU_DEP_2) | instskip(NEXT) | instid1(VALU_DEP_2)
	v_add_f64 v[50:51], v[54:55], v[50:51]
	v_mul_f64 v[56:57], v[52:53], 0.5
	v_mul_f64 v[71:72], v[58:59], -v[52:53]
	s_delay_alu instid0(VALU_DEP_2) | instskip(NEXT) | instid1(VALU_DEP_1)
	v_add_f64 v[63:64], -v[56:57], 1.0
	v_add_f64 v[67:68], -v[63:64], 1.0
	s_delay_alu instid0(VALU_DEP_1) | instskip(SKIP_1) | instid1(VALU_DEP_2)
	v_add_f64 v[56:57], v[67:68], -v[56:57]
	v_fma_f64 v[67:68], v[52:53], s[28:29], s[26:27]
	v_fma_f64 v[56:57], v[58:59], -v[60:61], v[56:57]
	s_delay_alu instid0(VALU_DEP_2) | instskip(NEXT) | instid1(VALU_DEP_1)
	v_fma_f64 v[67:68], v[52:53], v[67:68], s[30:31]
	v_fma_f64 v[67:68], v[52:53], v[67:68], s[34:35]
	s_delay_alu instid0(VALU_DEP_1) | instskip(NEXT) | instid1(VALU_DEP_1)
	v_fma_f64 v[67:68], v[52:53], v[67:68], s[36:37]
	v_fma_f64 v[67:68], v[71:72], v[67:68], v[69:70]
	s_delay_alu instid0(VALU_DEP_1) | instskip(SKIP_1) | instid1(VALU_DEP_1)
	v_fma_f64 v[60:61], v[52:53], v[67:68], -v[60:61]
	v_fma_f64 v[67:68], v[52:53], s[16:17], s[14:15]
	v_fma_f64 v[67:68], v[52:53], v[67:68], s[18:19]
	s_delay_alu instid0(VALU_DEP_1) | instskip(NEXT) | instid1(VALU_DEP_1)
	v_fma_f64 v[67:68], v[52:53], v[67:68], s[20:21]
	v_fma_f64 v[67:68], v[52:53], v[67:68], s[22:23]
	s_delay_alu instid0(VALU_DEP_1) | instskip(SKIP_1) | instid1(VALU_DEP_1)
	v_fma_f64 v[67:68], v[52:53], v[67:68], s[60:61]
	v_mul_f64 v[52:53], v[52:53], v[52:53]
	v_fma_f64 v[52:53], v[52:53], v[67:68], v[56:57]
	v_fma_f64 v[56:57], v[71:72], s[38:39], v[60:61]
	s_delay_alu instid0(VALU_DEP_2) | instskip(NEXT) | instid1(VALU_DEP_2)
	v_add_f64 v[52:53], v[63:64], v[52:53]
	v_add_f64 v[56:57], v[58:59], -v[56:57]
	s_delay_alu instid0(VALU_DEP_1) | instskip(SKIP_2) | instid1(VALU_DEP_2)
	v_xor_b32_e32 v57, 0x80000000, v57
	v_and_b32_e32 v58, 1, v27
	v_lshlrev_b32_e32 v27, 30, v27
	v_cmp_eq_u32_e32 vcc_lo, 0, v58
	s_delay_alu instid0(VALU_DEP_2) | instskip(SKIP_2) | instid1(VALU_DEP_1)
	v_and_b32_e32 v27, 0x80000000, v27
	v_add_f64 v[58:59], v[2:3], v[2:3]
	v_dual_cndmask_b32 v52, v56, v52 :: v_dual_cndmask_b32 v53, v57, v53
	v_cndmask_b32_e64 v52, 0, v52, s0
	s_delay_alu instid0(VALU_DEP_2) | instskip(NEXT) | instid1(VALU_DEP_1)
	v_xor_b32_e32 v27, v53, v27
	v_cndmask_b32_e64 v53, 0x7ff80000, v27, s0
	v_and_b32_e32 v27, 1, v62
	s_delay_alu instid0(VALU_DEP_2) | instskip(SKIP_1) | instid1(VALU_DEP_2)
	v_mul_f64 v[56:57], v[52:53], v[52:53]
	v_fma_f64 v[60:61], v[2:3], v[2:3], -v[58:59]
	v_mul_f64 v[56:57], v[6:7], v[56:57]
	s_delay_alu instid0(VALU_DEP_2) | instskip(NEXT) | instid1(VALU_DEP_2)
	v_add_f64 v[60:61], v[6:7], v[60:61]
	v_fma_f64 v[56:57], v[2:3], v[2:3], v[56:57]
	s_delay_alu instid0(VALU_DEP_1) | instskip(NEXT) | instid1(VALU_DEP_1)
	v_mul_f64 v[63:64], v[60:61], v[56:57]
	v_div_scale_f64 v[67:68], null, v[63:64], v[63:64], 1.0
	s_delay_alu instid0(VALU_DEP_1) | instskip(SKIP_2) | instid1(VALU_DEP_1)
	v_rcp_f64_e32 v[69:70], v[67:68]
	s_waitcnt_depctr 0xfff
	v_fma_f64 v[71:72], -v[67:68], v[69:70], 1.0
	v_fma_f64 v[69:70], v[69:70], v[71:72], v[69:70]
	s_delay_alu instid0(VALU_DEP_1) | instskip(NEXT) | instid1(VALU_DEP_1)
	v_fma_f64 v[71:72], -v[67:68], v[69:70], 1.0
	v_fma_f64 v[69:70], v[69:70], v[71:72], v[69:70]
	v_div_scale_f64 v[71:72], vcc_lo, 1.0, v[63:64], 1.0
	s_delay_alu instid0(VALU_DEP_1) | instskip(NEXT) | instid1(VALU_DEP_1)
	v_mul_f64 v[73:74], v[71:72], v[69:70]
	v_fma_f64 v[67:68], -v[67:68], v[73:74], v[71:72]
	s_delay_alu instid0(VALU_DEP_1) | instskip(SKIP_1) | instid1(VALU_DEP_1)
	v_div_fmas_f64 v[67:68], v[67:68], v[69:70], v[73:74]
	v_div_scale_f64 v[69:70], null, v[56:57], v[56:57], 1.0
	v_rcp_f64_e32 v[71:72], v[69:70]
	s_waitcnt_depctr 0xfff
	v_fma_f64 v[73:74], -v[69:70], v[71:72], 1.0
	s_delay_alu instid0(VALU_DEP_1) | instskip(NEXT) | instid1(VALU_DEP_1)
	v_fma_f64 v[71:72], v[71:72], v[73:74], v[71:72]
	v_fma_f64 v[73:74], -v[69:70], v[71:72], 1.0
	s_delay_alu instid0(VALU_DEP_1) | instskip(SKIP_1) | instid1(VALU_DEP_1)
	v_fma_f64 v[71:72], v[71:72], v[73:74], v[71:72]
	v_div_scale_f64 v[73:74], vcc_lo, 1.0, v[56:57], 1.0
	v_mul_f64 v[75:76], v[73:74], v[71:72]
	s_delay_alu instid0(VALU_DEP_1) | instskip(NEXT) | instid1(VALU_DEP_1)
	v_fma_f64 v[69:70], -v[69:70], v[75:76], v[73:74]
	v_div_fmas_f64 v[69:70], v[69:70], v[71:72], v[75:76]
	v_cmp_eq_u32_e32 vcc_lo, 0, v27
	v_dual_cndmask_b32 v27, v50, v46 :: v_dual_cndmask_b32 v46, v51, v47
	v_fma_f64 v[50:51], v[2:3], -2.0, v[56:57]
	v_lshlrev_b32_e32 v47, 30, v62
	v_div_fixup_f64 v[62:63], v[67:68], v[63:64], 1.0
	s_delay_alu instid0(VALU_DEP_2) | instskip(NEXT) | instid1(VALU_DEP_1)
	v_xor_b32_e32 v47, v47, v5
	v_and_b32_e32 v47, 0x80000000, v47
	s_delay_alu instid0(VALU_DEP_1) | instskip(SKIP_1) | instid1(VALU_DEP_2)
	v_xor_b32_e32 v47, v46, v47
	v_cndmask_b32_e64 v46, 0, v27, s0
	v_cndmask_b32_e64 v47, 0x7ff80000, v47, s0
	s_delay_alu instid0(VALU_DEP_1) | instskip(SKIP_2) | instid1(VALU_DEP_2)
	v_mul_f64 v[48:49], v[46:47], v[46:47]
	v_cmp_gt_f64_e64 s0, s[12:13], v[46:47]
	v_mul_f64 v[50:51], v[18:19], v[50:51]
	v_cndmask_b32_e64 v49, v49, 0x3c9cd2b2, s0
	s_delay_alu instid0(VALU_DEP_4) | instskip(SKIP_4) | instid1(VALU_DEP_1)
	v_cndmask_b32_e64 v48, v48, 0x97d889bc, s0
	v_cndmask_b32_e64 v47, v47, 0x3e45798e, s0
	;; [unrolled: 1-line block ×3, first 2 shown]
	s_mov_b32 s0, 0xd2f1a9fc
	s_mov_b32 s1, 0x3f50624d
	v_mul_f64 v[52:53], -v[46:47], v[52:53]
	v_div_scale_f64 v[54:55], null, v[48:49], v[48:49], v[50:51]
	s_delay_alu instid0(VALU_DEP_1) | instskip(SKIP_2) | instid1(VALU_DEP_1)
	v_rcp_f64_e32 v[65:66], v[54:55]
	s_waitcnt_depctr 0xfff
	v_fma_f64 v[71:72], -v[54:55], v[65:66], 1.0
	v_fma_f64 v[65:66], v[65:66], v[71:72], v[65:66]
	s_delay_alu instid0(VALU_DEP_1) | instskip(NEXT) | instid1(VALU_DEP_1)
	v_fma_f64 v[71:72], -v[54:55], v[65:66], 1.0
	v_fma_f64 v[65:66], v[65:66], v[71:72], v[65:66]
	v_div_scale_f64 v[71:72], vcc_lo, v[50:51], v[48:49], v[50:51]
	s_delay_alu instid0(VALU_DEP_1) | instskip(NEXT) | instid1(VALU_DEP_1)
	v_mul_f64 v[73:74], v[71:72], v[65:66]
	v_fma_f64 v[54:55], -v[54:55], v[73:74], v[71:72]
	s_delay_alu instid0(VALU_DEP_1) | instskip(SKIP_1) | instid1(VALU_DEP_2)
	v_div_fmas_f64 v[54:55], v[54:55], v[65:66], v[73:74]
	v_mul_f64 v[65:66], v[48:49], v[48:49]
	v_div_fixup_f64 v[48:49], v[54:55], v[48:49], v[50:51]
	s_delay_alu instid0(VALU_DEP_2)
	v_div_scale_f64 v[71:72], null, v[65:66], v[65:66], v[20:21]
	v_div_fixup_f64 v[50:51], v[69:70], v[56:57], 1.0
	v_fma_f64 v[54:55], v[2:3], v[2:3], v[6:7]
	v_add_f64 v[56:57], v[14:15], v[14:15]
	v_add_f64 v[69:70], v[2:3], -1.0
	v_fma_f64 v[48:49], s[8:9], v[58:59], v[48:49]
	v_rcp_f64_e32 v[73:74], v[71:72]
	s_delay_alu instid0(VALU_DEP_4) | instskip(NEXT) | instid1(VALU_DEP_4)
	v_mul_f64 v[54:55], v[58:59], v[54:55]
	v_mul_f64 v[56:57], v[14:15], v[56:57]
	s_waitcnt_depctr 0xfff
	v_fma_f64 v[75:76], -v[71:72], v[73:74], 1.0
	v_mul_f64 v[56:57], v[69:70], v[56:57]
	v_fma_f64 v[69:70], -v[22:23], v[69:70], v[54:55]
	s_delay_alu instid0(VALU_DEP_3) | instskip(NEXT) | instid1(VALU_DEP_3)
	v_fma_f64 v[73:74], v[73:74], v[75:76], v[73:74]
	v_mul_f64 v[56:57], v[56:57], v[50:51]
	s_delay_alu instid0(VALU_DEP_3) | instskip(NEXT) | instid1(VALU_DEP_3)
	v_add_f64 v[46:47], v[69:70], -v[28:29]
	v_fma_f64 v[75:76], -v[71:72], v[73:74], 1.0
	s_delay_alu instid0(VALU_DEP_2) | instskip(SKIP_1) | instid1(VALU_DEP_3)
	v_fma_f64 v[46:47], v[46:47], v[62:63], -v[56:57]
	v_mul_f64 v[56:57], v[62:63], -v[48:49]
	v_fma_f64 v[73:74], v[73:74], v[75:76], v[73:74]
	v_div_scale_f64 v[75:76], vcc_lo, v[20:21], v[65:66], v[20:21]
	s_delay_alu instid0(VALU_DEP_1) | instskip(NEXT) | instid1(VALU_DEP_1)
	v_mul_f64 v[77:78], v[75:76], v[73:74]
	v_fma_f64 v[71:72], -v[71:72], v[77:78], v[75:76]
	s_delay_alu instid0(VALU_DEP_1) | instskip(SKIP_1) | instid1(VALU_DEP_2)
	v_div_fmas_f64 v[71:72], v[71:72], v[73:74], v[77:78]
	v_mul_f64 v[73:74], s[8:9], v[58:59]
	v_div_fixup_f64 v[64:65], v[71:72], v[65:66], v[20:21]
	s_delay_alu instid0(VALU_DEP_2) | instskip(NEXT) | instid1(VALU_DEP_2)
	v_fma_f64 v[54:55], -v[18:19], v[73:74], v[54:55]
	v_add_f64 v[48:49], v[64:65], -v[6:7]
	s_delay_alu instid0(VALU_DEP_2) | instskip(NEXT) | instid1(VALU_DEP_2)
	v_fma_f64 v[54:55], v[54:55], v[62:63], 1.0
	v_mul_f64 v[52:53], v[48:49], v[52:53]
	v_mul_f64 v[48:49], v[60:61], -v[14:15]
	v_mul_f64 v[60:61], v[50:51], -v[16:17]
	s_delay_alu instid0(VALU_DEP_3) | instskip(NEXT) | instid1(VALU_DEP_3)
	v_mul_f64 v[58:59], v[52:53], v[50:51]
	v_mul_f64 v[48:49], v[48:49], v[50:51]
	s_delay_alu instid0(VALU_DEP_3) | instskip(SKIP_1) | instid1(VALU_DEP_3)
	v_mul_f64 v[62:63], v[44:45], v[60:61]
	v_mul_f64 v[50:51], v[44:45], -v[54:55]
	v_mul_f64 v[52:53], v[44:45], v[48:49]
	s_delay_alu instid0(VALU_DEP_3) | instskip(SKIP_1) | instid1(VALU_DEP_4)
	v_add_f64 v[64:65], |v[62:63]|, |v[4:5]|
	v_mul_f64 v[62:63], v[44:45], v[56:57]
	v_add_f64 v[50:51], |v[50:51]|, |v[38:39]|
	s_delay_alu instid0(VALU_DEP_4) | instskip(NEXT) | instid1(VALU_DEP_4)
	v_add_f64 v[52:53], |v[52:53]|, |v[2:3]|
	v_add_f64 v[64:65], v[64:65], s[0:1]
	s_delay_alu instid0(VALU_DEP_4) | instskip(SKIP_2) | instid1(VALU_DEP_3)
	v_add_f64 v[66:67], |v[62:63]|, |v[8:9]|
	v_mul_f64 v[62:63], v[44:45], -v[46:47]
	v_add_f64 v[68:69], v[50:51], s[0:1]
	v_add_f64 v[66:67], v[66:67], s[0:1]
	s_delay_alu instid0(VALU_DEP_3) | instskip(SKIP_1) | instid1(VALU_DEP_2)
	v_add_f64 v[70:71], |v[62:63]|, |v[14:15]|
	v_mul_f64 v[62:63], v[44:45], v[58:59]
	v_add_f64 v[70:71], v[70:71], s[0:1]
	s_delay_alu instid0(VALU_DEP_2) | instskip(SKIP_1) | instid1(VALU_DEP_2)
	v_add_f64 v[72:73], |v[62:63]|, |v[16:17]|
	v_add_f64 v[62:63], v[52:53], s[0:1]
	v_add_f64 v[72:73], v[72:73], s[0:1]
	s_branch .LBB1_93
.LBB1_90:                               ;   in Loop: Header=BB1_93 Depth=3
	s_or_b32 exec_lo, exec_lo, s33
.LBB1_91:                               ;   in Loop: Header=BB1_93 Depth=3
	s_delay_alu instid0(SALU_CYCLE_1) | instskip(NEXT) | instid1(SALU_CYCLE_1)
	s_or_b32 exec_lo, exec_lo, s1
	s_xor_b32 s1, exec_lo, -1
.LBB1_92:                               ;   in Loop: Header=BB1_93 Depth=3
	s_or_b32 exec_lo, exec_lo, s0
	s_delay_alu instid0(SALU_CYCLE_1) | instskip(NEXT) | instid1(SALU_CYCLE_1)
	s_and_b32 s0, exec_lo, s1
	s_or_b32 s4, s0, s4
	s_delay_alu instid0(SALU_CYCLE_1)
	s_and_not1_b32 exec_lo, exec_lo, s4
	s_cbranch_execz .LBB1_141
.LBB1_93:                               ;   Parent Loop BB1_79 Depth=1
                                        ;     Parent Loop BB1_81 Depth=2
                                        ; =>    This Inner Loop Header: Depth=3
	v_dual_mov_b32 v52, v120 :: v_dual_mov_b32 v53, v121
                                        ; implicit-def: $vgpr114
                                        ; implicit-def: $vgpr79_vgpr80
                                        ; implicit-def: $vgpr87_vgpr88
	s_delay_alu instid0(VALU_DEP_1) | instskip(NEXT) | instid1(VALU_DEP_1)
	v_mul_f64 v[50:51], v[60:61], v[52:53]
	v_fma_f64 v[77:78], v[50:51], s[42:43], v[4:5]
	s_delay_alu instid0(VALU_DEP_1)
	v_cmp_ngt_f64_e64 s0, 0x41d00000, |v[77:78]|
	v_trig_preop_f64 v[83:84], |v[77:78]|, 0
	v_trig_preop_f64 v[74:75], |v[77:78]|, 1
	v_ldexp_f64 v[85:86], |v[77:78]|, 0xffffff80
	v_trig_preop_f64 v[81:82], |v[77:78]|, 2
	v_and_b32_e32 v76, 0x7fffffff, v78
	s_and_saveexec_b32 s1, s0
	s_delay_alu instid0(SALU_CYCLE_1)
	s_xor_b32 s1, exec_lo, s1
	s_cbranch_execz .LBB1_95
; %bb.94:                               ;   in Loop: Header=BB1_93 Depth=3
	v_cmp_le_f64_e64 vcc_lo, 0x7b000000, |v[77:78]|
	s_mov_b32 s94, s96
	s_mov_b32 s101, s99
	s_delay_alu instid0(VALU_DEP_4) | instskip(NEXT) | instid1(VALU_DEP_1)
	v_dual_cndmask_b32 v80, v76, v86 :: v_dual_cndmask_b32 v79, v77, v85
	v_mul_f64 v[87:88], v[83:84], v[79:80]
	v_mul_f64 v[89:90], v[74:75], v[79:80]
	s_delay_alu instid0(VALU_DEP_2) | instskip(NEXT) | instid1(VALU_DEP_1)
	v_fma_f64 v[91:92], v[83:84], v[79:80], -v[87:88]
	v_add_f64 v[93:94], v[89:90], v[91:92]
	s_delay_alu instid0(VALU_DEP_1) | instskip(NEXT) | instid1(VALU_DEP_1)
	v_add_f64 v[95:96], v[93:94], -v[89:90]
	v_add_f64 v[91:92], v[91:92], -v[95:96]
	;; [unrolled: 1-line block ×3, first 2 shown]
	s_delay_alu instid0(VALU_DEP_1) | instskip(SKIP_1) | instid1(VALU_DEP_2)
	v_add_f64 v[95:96], v[89:90], -v[95:96]
	v_fma_f64 v[89:90], v[74:75], v[79:80], -v[89:90]
	v_add_f64 v[91:92], v[91:92], v[95:96]
	v_mul_f64 v[95:96], v[81:82], v[79:80]
	s_delay_alu instid0(VALU_DEP_1) | instskip(SKIP_1) | instid1(VALU_DEP_2)
	v_add_f64 v[97:98], v[95:96], v[89:90]
	v_fma_f64 v[79:80], v[81:82], v[79:80], -v[95:96]
	v_add_f64 v[99:100], v[97:98], -v[95:96]
	s_delay_alu instid0(VALU_DEP_1) | instskip(SKIP_1) | instid1(VALU_DEP_1)
	v_add_f64 v[89:90], v[89:90], -v[99:100]
	v_add_f64 v[99:100], v[97:98], -v[99:100]
	;; [unrolled: 1-line block ×3, first 2 shown]
	s_delay_alu instid0(VALU_DEP_1) | instskip(SKIP_1) | instid1(VALU_DEP_1)
	v_add_f64 v[89:90], v[89:90], v[99:100]
	v_add_f64 v[99:100], v[97:98], v[91:92]
	v_add_f64 v[101:102], v[99:100], -v[97:98]
	s_delay_alu instid0(VALU_DEP_1) | instskip(SKIP_1) | instid1(VALU_DEP_1)
	v_add_f64 v[91:92], v[91:92], -v[101:102]
	v_add_f64 v[101:102], v[99:100], -v[101:102]
	;; [unrolled: 1-line block ×3, first 2 shown]
	v_add_f64 v[101:102], v[87:88], v[93:94]
	s_delay_alu instid0(VALU_DEP_2) | instskip(NEXT) | instid1(VALU_DEP_2)
	v_add_f64 v[91:92], v[91:92], v[97:98]
	v_add_f64 v[87:88], v[101:102], -v[87:88]
	v_ldexp_f64 v[101:102], v[101:102], -2
	s_delay_alu instid0(VALU_DEP_3) | instskip(NEXT) | instid1(VALU_DEP_3)
	v_add_f64 v[89:90], v[89:90], v[91:92]
	v_add_f64 v[87:88], v[93:94], -v[87:88]
	s_delay_alu instid0(VALU_DEP_3) | instskip(SKIP_1) | instid1(VALU_DEP_4)
	v_fract_f64_e32 v[103:104], v[101:102]
	v_cmp_neq_f64_e64 vcc_lo, 0x7ff00000, |v[101:102]|
	v_add_f64 v[79:80], v[79:80], v[89:90]
	s_delay_alu instid0(VALU_DEP_4) | instskip(NEXT) | instid1(VALU_DEP_4)
	v_add_f64 v[91:92], v[87:88], v[99:100]
	v_dual_cndmask_b32 v94, 0, v104 :: v_dual_cndmask_b32 v93, 0, v103
	s_delay_alu instid0(VALU_DEP_1) | instskip(NEXT) | instid1(VALU_DEP_3)
	v_ldexp_f64 v[89:90], v[93:94], 2
	v_add_f64 v[87:88], v[91:92], -v[87:88]
	s_delay_alu instid0(VALU_DEP_2) | instskip(NEXT) | instid1(VALU_DEP_2)
	v_add_f64 v[93:94], v[91:92], v[89:90]
	v_add_f64 v[87:88], v[99:100], -v[87:88]
	s_delay_alu instid0(VALU_DEP_2) | instskip(NEXT) | instid1(VALU_DEP_2)
	v_cmp_gt_f64_e32 vcc_lo, 0, v[93:94]
	v_add_f64 v[79:80], v[87:88], v[79:80]
	v_cndmask_b32_e64 v27, 0, 0x40100000, vcc_lo
	s_delay_alu instid0(VALU_DEP_1) | instskip(NEXT) | instid1(VALU_DEP_1)
	v_add_f64 v[89:90], v[89:90], v[26:27]
	v_add_f64 v[93:94], v[91:92], v[89:90]
	s_delay_alu instid0(VALU_DEP_1) | instskip(NEXT) | instid1(VALU_DEP_1)
	v_cvt_i32_f64_e32 v95, v[93:94]
	v_cvt_f64_i32_e32 v[93:94], v95
	s_delay_alu instid0(VALU_DEP_1) | instskip(NEXT) | instid1(VALU_DEP_1)
	v_add_f64 v[89:90], v[89:90], -v[93:94]
	v_add_f64 v[87:88], v[91:92], v[89:90]
	s_delay_alu instid0(VALU_DEP_1) | instskip(SKIP_1) | instid1(VALU_DEP_2)
	v_add_f64 v[89:90], v[87:88], -v[89:90]
	v_cmp_le_f64_e32 vcc_lo, 0.5, v[87:88]
	v_add_f64 v[89:90], v[91:92], -v[89:90]
	v_cndmask_b32_e64 v27, 0, 0x3ff00000, vcc_lo
	v_add_co_ci_u32_e32 v114, vcc_lo, 0, v95, vcc_lo
	s_delay_alu instid0(VALU_DEP_2) | instskip(NEXT) | instid1(VALU_DEP_4)
	v_add_f64 v[87:88], v[87:88], -v[26:27]
	v_add_f64 v[79:80], v[79:80], v[89:90]
	s_delay_alu instid0(VALU_DEP_1) | instskip(NEXT) | instid1(VALU_DEP_1)
	v_add_f64 v[89:90], v[87:88], v[79:80]
	v_add_f64 v[87:88], v[89:90], -v[87:88]
	s_delay_alu instid0(VALU_DEP_1) | instskip(SKIP_1) | instid1(VALU_DEP_1)
	v_add_f64 v[79:80], v[79:80], -v[87:88]
	v_mul_f64 v[87:88], v[89:90], s[94:95]
	v_fma_f64 v[91:92], v[89:90], s[94:95], -v[87:88]
	s_delay_alu instid0(VALU_DEP_1) | instskip(NEXT) | instid1(VALU_DEP_1)
	v_fma_f64 v[89:90], v[89:90], s[100:101], v[91:92]
	v_fma_f64 v[89:90], v[79:80], s[94:95], v[89:90]
	s_delay_alu instid0(VALU_DEP_1) | instskip(NEXT) | instid1(VALU_DEP_1)
	v_add_f64 v[79:80], v[87:88], v[89:90]
	v_add_f64 v[87:88], v[79:80], -v[87:88]
	s_delay_alu instid0(VALU_DEP_1)
	v_add_f64 v[87:88], v[89:90], -v[87:88]
	s_and_not1_saveexec_b32 s1, s1
	s_cbranch_execz .LBB1_97
	s_branch .LBB1_96
.LBB1_95:                               ;   in Loop: Header=BB1_93 Depth=3
	s_and_not1_saveexec_b32 s1, s1
	s_cbranch_execz .LBB1_97
.LBB1_96:                               ;   in Loop: Header=BB1_93 Depth=3
	v_mul_f64 v[79:80], |v[77:78]|, s[102:103]
	s_mov_b32 s98, s10
	s_delay_alu instid0(VALU_DEP_1) | instskip(NEXT) | instid1(VALU_DEP_1)
	v_rndne_f64_e32 v[89:90], v[79:80]
	v_fma_f64 v[79:80], v[89:90], s[96:97], |v[77:78]|
	v_mul_f64 v[87:88], v[89:90], s[10:11]
	v_cvt_i32_f64_e32 v114, v[89:90]
	s_delay_alu instid0(VALU_DEP_3) | instskip(NEXT) | instid1(VALU_DEP_3)
	v_fma_f64 v[93:94], v[89:90], s[10:11], v[79:80]
	v_add_f64 v[91:92], v[79:80], v[87:88]
	s_delay_alu instid0(VALU_DEP_1) | instskip(NEXT) | instid1(VALU_DEP_3)
	v_add_f64 v[79:80], v[79:80], -v[91:92]
	v_add_f64 v[91:92], v[91:92], -v[93:94]
	s_delay_alu instid0(VALU_DEP_2) | instskip(SKIP_1) | instid1(VALU_DEP_2)
	v_add_f64 v[79:80], v[79:80], v[87:88]
	v_fma_f64 v[87:88], v[89:90], s[98:99], v[87:88]
	v_add_f64 v[79:80], v[91:92], v[79:80]
	s_delay_alu instid0(VALU_DEP_1) | instskip(NEXT) | instid1(VALU_DEP_1)
	v_add_f64 v[79:80], v[79:80], -v[87:88]
	v_fma_f64 v[87:88], v[89:90], s[6:7], v[79:80]
	s_delay_alu instid0(VALU_DEP_1) | instskip(NEXT) | instid1(VALU_DEP_1)
	v_add_f64 v[79:80], v[93:94], v[87:88]
	v_add_f64 v[91:92], v[79:80], -v[93:94]
	s_delay_alu instid0(VALU_DEP_1)
	v_add_f64 v[87:88], v[87:88], -v[91:92]
.LBB1_97:                               ;   in Loop: Header=BB1_93 Depth=3
	s_or_b32 exec_lo, exec_lo, s1
                                        ; implicit-def: $vgpr27
                                        ; implicit-def: $vgpr89_vgpr90
                                        ; implicit-def: $vgpr91_vgpr92
	s_and_saveexec_b32 s1, s0
	s_delay_alu instid0(SALU_CYCLE_1)
	s_xor_b32 s0, exec_lo, s1
	s_cbranch_execz .LBB1_99
; %bb.98:                               ;   in Loop: Header=BB1_93 Depth=3
	v_cmp_le_f64_e64 vcc_lo, 0x7b000000, |v[77:78]|
	s_mov_b32 s94, s96
	s_mov_b32 s101, s99
	s_delay_alu instid0(VALU_DEP_4) | instskip(NEXT) | instid1(VALU_DEP_1)
	v_dual_cndmask_b32 v86, v76, v86 :: v_dual_cndmask_b32 v85, v77, v85
	v_mul_f64 v[89:90], v[83:84], v[85:86]
	v_mul_f64 v[91:92], v[74:75], v[85:86]
	;; [unrolled: 1-line block ×3, first 2 shown]
	s_delay_alu instid0(VALU_DEP_3) | instskip(NEXT) | instid1(VALU_DEP_3)
	v_fma_f64 v[83:84], v[83:84], v[85:86], -v[89:90]
	v_fma_f64 v[74:75], v[74:75], v[85:86], -v[91:92]
	s_delay_alu instid0(VALU_DEP_3) | instskip(NEXT) | instid1(VALU_DEP_3)
	v_fma_f64 v[81:82], v[81:82], v[85:86], -v[93:94]
	v_add_f64 v[95:96], v[91:92], v[83:84]
	s_delay_alu instid0(VALU_DEP_1) | instskip(NEXT) | instid1(VALU_DEP_1)
	v_add_f64 v[85:86], v[95:96], -v[91:92]
	v_add_f64 v[83:84], v[83:84], -v[85:86]
	;; [unrolled: 1-line block ×3, first 2 shown]
	s_delay_alu instid0(VALU_DEP_1) | instskip(SKIP_1) | instid1(VALU_DEP_2)
	v_add_f64 v[85:86], v[91:92], -v[85:86]
	v_add_f64 v[91:92], v[89:90], v[95:96]
	v_add_f64 v[83:84], v[83:84], v[85:86]
	s_delay_alu instid0(VALU_DEP_2) | instskip(SKIP_1) | instid1(VALU_DEP_2)
	v_add_f64 v[89:90], v[91:92], -v[89:90]
	v_ldexp_f64 v[91:92], v[91:92], -2
	v_add_f64 v[89:90], v[95:96], -v[89:90]
	v_add_f64 v[95:96], v[93:94], v[74:75]
	s_delay_alu instid0(VALU_DEP_3) | instskip(SKIP_1) | instid1(VALU_DEP_3)
	v_fract_f64_e32 v[85:86], v[91:92]
	v_cmp_neq_f64_e64 vcc_lo, 0x7ff00000, |v[91:92]|
	v_add_f64 v[91:92], v[95:96], -v[93:94]
	s_delay_alu instid0(VALU_DEP_3) | instskip(NEXT) | instid1(VALU_DEP_1)
	v_dual_cndmask_b32 v86, 0, v86 :: v_dual_cndmask_b32 v85, 0, v85
	v_ldexp_f64 v[85:86], v[85:86], 2
	s_delay_alu instid0(VALU_DEP_3) | instskip(SKIP_1) | instid1(VALU_DEP_1)
	v_add_f64 v[74:75], v[74:75], -v[91:92]
	v_add_f64 v[91:92], v[95:96], -v[91:92]
	v_add_f64 v[91:92], v[93:94], -v[91:92]
	v_add_f64 v[93:94], v[95:96], v[83:84]
	s_delay_alu instid0(VALU_DEP_2) | instskip(NEXT) | instid1(VALU_DEP_2)
	v_add_f64 v[74:75], v[74:75], v[91:92]
	v_add_f64 v[91:92], v[93:94], -v[95:96]
	s_delay_alu instid0(VALU_DEP_1) | instskip(SKIP_1) | instid1(VALU_DEP_1)
	v_add_f64 v[83:84], v[83:84], -v[91:92]
	v_add_f64 v[91:92], v[93:94], -v[91:92]
	v_add_f64 v[91:92], v[95:96], -v[91:92]
	v_add_f64 v[95:96], v[89:90], v[93:94]
	s_delay_alu instid0(VALU_DEP_2) | instskip(NEXT) | instid1(VALU_DEP_2)
	v_add_f64 v[83:84], v[83:84], v[91:92]
	v_add_f64 v[97:98], v[95:96], v[85:86]
	v_add_f64 v[89:90], v[95:96], -v[89:90]
	s_delay_alu instid0(VALU_DEP_3) | instskip(NEXT) | instid1(VALU_DEP_3)
	v_add_f64 v[74:75], v[74:75], v[83:84]
	v_cmp_gt_f64_e32 vcc_lo, 0, v[97:98]
	s_delay_alu instid0(VALU_DEP_3) | instskip(NEXT) | instid1(VALU_DEP_3)
	v_add_f64 v[89:90], v[93:94], -v[89:90]
	v_add_f64 v[74:75], v[81:82], v[74:75]
	v_cndmask_b32_e64 v27, 0, 0x40100000, vcc_lo
	s_delay_alu instid0(VALU_DEP_1) | instskip(NEXT) | instid1(VALU_DEP_3)
	v_add_f64 v[85:86], v[85:86], v[26:27]
	v_add_f64 v[74:75], v[89:90], v[74:75]
	s_delay_alu instid0(VALU_DEP_2) | instskip(NEXT) | instid1(VALU_DEP_1)
	v_add_f64 v[91:92], v[95:96], v[85:86]
	v_cvt_i32_f64_e32 v76, v[91:92]
	s_delay_alu instid0(VALU_DEP_1) | instskip(NEXT) | instid1(VALU_DEP_1)
	v_cvt_f64_i32_e32 v[91:92], v76
	v_add_f64 v[85:86], v[85:86], -v[91:92]
	s_delay_alu instid0(VALU_DEP_1) | instskip(NEXT) | instid1(VALU_DEP_1)
	v_add_f64 v[83:84], v[95:96], v[85:86]
	v_add_f64 v[81:82], v[83:84], -v[85:86]
	v_cmp_le_f64_e32 vcc_lo, 0.5, v[83:84]
	s_delay_alu instid0(VALU_DEP_2) | instskip(SKIP_1) | instid1(VALU_DEP_1)
	v_add_f64 v[81:82], v[95:96], -v[81:82]
	v_cndmask_b32_e64 v27, 0, 0x3ff00000, vcc_lo
	v_add_f64 v[83:84], v[83:84], -v[26:27]
	v_add_co_ci_u32_e32 v27, vcc_lo, 0, v76, vcc_lo
	s_delay_alu instid0(VALU_DEP_4) | instskip(NEXT) | instid1(VALU_DEP_1)
	v_add_f64 v[74:75], v[74:75], v[81:82]
	v_add_f64 v[81:82], v[83:84], v[74:75]
	s_delay_alu instid0(VALU_DEP_1) | instskip(SKIP_1) | instid1(VALU_DEP_2)
	v_mul_f64 v[85:86], v[81:82], s[94:95]
	v_add_f64 v[83:84], v[81:82], -v[83:84]
	v_fma_f64 v[89:90], v[81:82], s[94:95], -v[85:86]
	s_delay_alu instid0(VALU_DEP_2) | instskip(NEXT) | instid1(VALU_DEP_2)
	v_add_f64 v[74:75], v[74:75], -v[83:84]
	v_fma_f64 v[81:82], v[81:82], s[100:101], v[89:90]
	s_delay_alu instid0(VALU_DEP_1) | instskip(NEXT) | instid1(VALU_DEP_1)
	v_fma_f64 v[74:75], v[74:75], s[94:95], v[81:82]
	v_add_f64 v[89:90], v[85:86], v[74:75]
	s_delay_alu instid0(VALU_DEP_1) | instskip(NEXT) | instid1(VALU_DEP_1)
	v_add_f64 v[81:82], v[89:90], -v[85:86]
	v_add_f64 v[91:92], v[74:75], -v[81:82]
	s_and_not1_saveexec_b32 s0, s0
	s_cbranch_execnz .LBB1_100
	s_branch .LBB1_101
.LBB1_99:                               ;   in Loop: Header=BB1_93 Depth=3
	s_and_not1_saveexec_b32 s0, s0
	s_cbranch_execz .LBB1_101
.LBB1_100:                              ;   in Loop: Header=BB1_93 Depth=3
	v_mul_f64 v[74:75], |v[77:78]|, s[102:103]
	s_mov_b32 s98, s10
	s_delay_alu instid0(VALU_DEP_1) | instskip(NEXT) | instid1(VALU_DEP_1)
	v_rndne_f64_e32 v[74:75], v[74:75]
	v_fma_f64 v[81:82], v[74:75], s[96:97], |v[77:78]|
	v_mul_f64 v[83:84], v[74:75], s[10:11]
	v_cvt_i32_f64_e32 v27, v[74:75]
	s_delay_alu instid0(VALU_DEP_3) | instskip(NEXT) | instid1(VALU_DEP_3)
	v_fma_f64 v[91:92], v[74:75], s[10:11], v[81:82]
	v_add_f64 v[85:86], v[81:82], v[83:84]
	s_delay_alu instid0(VALU_DEP_1) | instskip(NEXT) | instid1(VALU_DEP_3)
	v_add_f64 v[81:82], v[81:82], -v[85:86]
	v_add_f64 v[85:86], v[85:86], -v[91:92]
	s_delay_alu instid0(VALU_DEP_2) | instskip(SKIP_1) | instid1(VALU_DEP_2)
	v_add_f64 v[81:82], v[81:82], v[83:84]
	v_fma_f64 v[83:84], v[74:75], s[98:99], v[83:84]
	v_add_f64 v[81:82], v[85:86], v[81:82]
	s_delay_alu instid0(VALU_DEP_1) | instskip(NEXT) | instid1(VALU_DEP_1)
	v_add_f64 v[81:82], v[81:82], -v[83:84]
	v_fma_f64 v[81:82], v[74:75], s[6:7], v[81:82]
	s_delay_alu instid0(VALU_DEP_1) | instskip(NEXT) | instid1(VALU_DEP_1)
	v_add_f64 v[89:90], v[91:92], v[81:82]
	v_add_f64 v[83:84], v[89:90], -v[91:92]
	s_delay_alu instid0(VALU_DEP_1)
	v_add_f64 v[91:92], v[81:82], -v[83:84]
.LBB1_101:                              ;   in Loop: Header=BB1_93 Depth=3
	s_or_b32 exec_lo, exec_lo, s0
	v_mul_f64 v[74:75], v[89:90], v[89:90]
	s_delay_alu instid0(VALU_DEP_2) | instskip(SKIP_4) | instid1(VALU_DEP_3)
	v_mul_f64 v[93:94], v[91:92], 0.5
	s_mov_b32 s38, s60
	v_and_b32_e32 v76, 1, v27
	v_cmp_class_f64_e64 s0, v[77:78], 0x1f8
	v_lshlrev_b32_e32 v27, 30, v27
                                        ; implicit-def: $vgpr134
                                        ; implicit-def: $vgpr104_vgpr105
                                        ; implicit-def: $vgpr106_vgpr107
	v_cmp_eq_u32_e32 vcc_lo, 0, v76
	s_delay_alu instid0(VALU_DEP_2) | instskip(SKIP_2) | instid1(VALU_DEP_2)
	v_and_b32_e32 v27, 0x80000000, v27
	v_mul_f64 v[81:82], v[74:75], 0.5
	v_mul_f64 v[95:96], v[89:90], -v[74:75]
	v_add_f64 v[83:84], -v[81:82], 1.0
	s_delay_alu instid0(VALU_DEP_1) | instskip(NEXT) | instid1(VALU_DEP_1)
	v_add_f64 v[85:86], -v[83:84], 1.0
	v_add_f64 v[81:82], v[85:86], -v[81:82]
	v_fma_f64 v[85:86], v[74:75], s[28:29], s[26:27]
	s_delay_alu instid0(VALU_DEP_2) | instskip(NEXT) | instid1(VALU_DEP_2)
	v_fma_f64 v[81:82], v[89:90], -v[91:92], v[81:82]
	v_fma_f64 v[85:86], v[74:75], v[85:86], s[30:31]
	s_delay_alu instid0(VALU_DEP_1) | instskip(NEXT) | instid1(VALU_DEP_1)
	v_fma_f64 v[85:86], v[74:75], v[85:86], s[34:35]
	v_fma_f64 v[85:86], v[74:75], v[85:86], s[36:37]
	s_delay_alu instid0(VALU_DEP_1) | instskip(NEXT) | instid1(VALU_DEP_1)
	v_fma_f64 v[85:86], v[95:96], v[85:86], v[93:94]
	v_fma_f64 v[85:86], v[74:75], v[85:86], -v[91:92]
	v_fma_f64 v[91:92], v[74:75], s[16:17], s[14:15]
	s_delay_alu instid0(VALU_DEP_1) | instskip(NEXT) | instid1(VALU_DEP_1)
	v_fma_f64 v[91:92], v[74:75], v[91:92], s[18:19]
	v_fma_f64 v[91:92], v[74:75], v[91:92], s[20:21]
	s_delay_alu instid0(VALU_DEP_1) | instskip(NEXT) | instid1(VALU_DEP_1)
	v_fma_f64 v[91:92], v[74:75], v[91:92], s[22:23]
	v_fma_f64 v[91:92], v[74:75], v[91:92], s[60:61]
	v_mul_f64 v[74:75], v[74:75], v[74:75]
	s_delay_alu instid0(VALU_DEP_1) | instskip(SKIP_1) | instid1(VALU_DEP_2)
	v_fma_f64 v[74:75], v[74:75], v[91:92], v[81:82]
	v_fma_f64 v[81:82], v[95:96], s[38:39], v[85:86]
	v_add_f64 v[74:75], v[83:84], v[74:75]
	s_delay_alu instid0(VALU_DEP_2) | instskip(NEXT) | instid1(VALU_DEP_1)
	v_add_f64 v[81:82], v[89:90], -v[81:82]
	v_xor_b32_e32 v76, 0x80000000, v82
	s_delay_alu instid0(VALU_DEP_1) | instskip(SKIP_1) | instid1(VALU_DEP_2)
	v_dual_cndmask_b32 v74, v81, v74 :: v_dual_cndmask_b32 v75, v76, v75
	v_mul_f64 v[76:77], v[48:49], v[52:53]
	v_cndmask_b32_e64 v94, 0, v74, s0
	s_delay_alu instid0(VALU_DEP_3) | instskip(NEXT) | instid1(VALU_DEP_1)
	v_xor_b32_e32 v27, v75, v27
	v_cndmask_b32_e64 v95, 0x7ff80000, v27, s0
	s_delay_alu instid0(VALU_DEP_1) | instskip(SKIP_1) | instid1(VALU_DEP_1)
	v_mul_f64 v[74:75], v[94:95], v[94:95]
	v_fma_f64 v[100:101], v[76:77], s[42:43], v[2:3]
	v_mul_f64 v[102:103], v[100:101], v[100:101]
	s_delay_alu instid0(VALU_DEP_1) | instskip(NEXT) | instid1(VALU_DEP_1)
	v_fma_f64 v[83:84], v[6:7], v[74:75], v[102:103]
	v_div_scale_f64 v[74:75], null, v[83:84], v[83:84], 1.0
	s_delay_alu instid0(VALU_DEP_1) | instskip(SKIP_2) | instid1(VALU_DEP_1)
	v_rcp_f64_e32 v[81:82], v[74:75]
	s_waitcnt_depctr 0xfff
	v_fma_f64 v[85:86], -v[74:75], v[81:82], 1.0
	v_fma_f64 v[81:82], v[81:82], v[85:86], v[81:82]
	s_delay_alu instid0(VALU_DEP_1) | instskip(NEXT) | instid1(VALU_DEP_1)
	v_fma_f64 v[85:86], -v[74:75], v[81:82], 1.0
	v_fma_f64 v[81:82], v[81:82], v[85:86], v[81:82]
	v_div_scale_f64 v[85:86], vcc_lo, 1.0, v[83:84], 1.0
	s_delay_alu instid0(VALU_DEP_1) | instskip(NEXT) | instid1(VALU_DEP_1)
	v_mul_f64 v[89:90], v[85:86], v[81:82]
	v_fma_f64 v[74:75], -v[74:75], v[89:90], v[85:86]
	s_delay_alu instid0(VALU_DEP_1) | instskip(NEXT) | instid1(VALU_DEP_1)
	v_div_fmas_f64 v[74:75], v[74:75], v[81:82], v[89:90]
	v_div_fixup_f64 v[85:86], v[74:75], v[83:84], 1.0
	v_mul_f64 v[74:75], v[58:59], v[52:53]
	s_delay_alu instid0(VALU_DEP_1) | instskip(NEXT) | instid1(VALU_DEP_1)
	v_fma_f64 v[81:82], v[74:75], s[42:43], v[16:17]
	v_mul_f64 v[81:82], v[85:86], -v[81:82]
	s_delay_alu instid0(VALU_DEP_1) | instskip(SKIP_1) | instid1(VALU_DEP_1)
	v_mul_f64 v[90:91], v[52:53], v[81:82]
	v_fma_f64 v[81:82], v[50:51], s[52:53], v[4:5]
	v_fma_f64 v[81:82], v[90:91], s[50:51], v[81:82]
	s_delay_alu instid0(VALU_DEP_1)
	v_cmp_ngt_f64_e64 s1, 0x41d00000, |v[81:82]|
	v_trig_preop_f64 v[108:109], |v[81:82]|, 0
	v_trig_preop_f64 v[92:93], |v[81:82]|, 1
	v_ldexp_f64 v[110:111], |v[81:82]|, 0xffffff80
	v_trig_preop_f64 v[96:97], |v[81:82]|, 2
	v_and_b32_e32 v89, 0x7fffffff, v82
	s_and_saveexec_b32 s33, s1
	s_delay_alu instid0(SALU_CYCLE_1)
	s_xor_b32 s33, exec_lo, s33
	s_cbranch_execz .LBB1_103
; %bb.102:                              ;   in Loop: Header=BB1_93 Depth=3
	v_cmp_le_f64_e64 vcc_lo, 0x7b000000, |v[81:82]|
	s_mov_b32 s94, s96
	s_mov_b32 s101, s99
	s_delay_alu instid0(VALU_DEP_4) | instskip(SKIP_1) | instid1(VALU_DEP_1)
	v_cndmask_b32_e32 v99, v89, v111, vcc_lo
	v_cndmask_b32_e32 v98, v81, v110, vcc_lo
	v_mul_f64 v[104:105], v[108:109], v[98:99]
	v_mul_f64 v[106:107], v[92:93], v[98:99]
	s_delay_alu instid0(VALU_DEP_2) | instskip(NEXT) | instid1(VALU_DEP_1)
	v_fma_f64 v[112:113], v[108:109], v[98:99], -v[104:105]
	v_add_f64 v[115:116], v[106:107], v[112:113]
	s_delay_alu instid0(VALU_DEP_1) | instskip(NEXT) | instid1(VALU_DEP_1)
	v_add_f64 v[117:118], v[115:116], -v[106:107]
	v_add_f64 v[112:113], v[112:113], -v[117:118]
	;; [unrolled: 1-line block ×3, first 2 shown]
	s_delay_alu instid0(VALU_DEP_1) | instskip(SKIP_1) | instid1(VALU_DEP_2)
	v_add_f64 v[117:118], v[106:107], -v[117:118]
	v_fma_f64 v[106:107], v[92:93], v[98:99], -v[106:107]
	v_add_f64 v[112:113], v[112:113], v[117:118]
	v_mul_f64 v[117:118], v[96:97], v[98:99]
	s_delay_alu instid0(VALU_DEP_1) | instskip(NEXT) | instid1(VALU_DEP_1)
	v_add_f64 v[119:120], v[117:118], v[106:107]
	v_add_f64 v[121:122], v[119:120], -v[117:118]
	s_delay_alu instid0(VALU_DEP_1) | instskip(SKIP_1) | instid1(VALU_DEP_1)
	v_add_f64 v[106:107], v[106:107], -v[121:122]
	v_add_f64 v[121:122], v[119:120], -v[121:122]
	;; [unrolled: 1-line block ×3, first 2 shown]
	s_delay_alu instid0(VALU_DEP_1) | instskip(SKIP_1) | instid1(VALU_DEP_1)
	v_add_f64 v[106:107], v[106:107], v[121:122]
	v_add_f64 v[121:122], v[119:120], v[112:113]
	v_add_f64 v[123:124], v[121:122], -v[119:120]
	s_delay_alu instid0(VALU_DEP_1) | instskip(SKIP_1) | instid1(VALU_DEP_1)
	v_add_f64 v[112:113], v[112:113], -v[123:124]
	v_add_f64 v[123:124], v[121:122], -v[123:124]
	;; [unrolled: 1-line block ×3, first 2 shown]
	v_add_f64 v[123:124], v[104:105], v[115:116]
	s_delay_alu instid0(VALU_DEP_2) | instskip(NEXT) | instid1(VALU_DEP_2)
	v_add_f64 v[112:113], v[112:113], v[119:120]
	v_add_f64 v[104:105], v[123:124], -v[104:105]
	v_ldexp_f64 v[123:124], v[123:124], -2
	s_delay_alu instid0(VALU_DEP_3) | instskip(NEXT) | instid1(VALU_DEP_3)
	v_add_f64 v[106:107], v[106:107], v[112:113]
	v_add_f64 v[104:105], v[115:116], -v[104:105]
	s_delay_alu instid0(VALU_DEP_3) | instskip(SKIP_1) | instid1(VALU_DEP_3)
	v_fract_f64_e32 v[125:126], v[123:124]
	v_cmp_neq_f64_e64 vcc_lo, 0x7ff00000, |v[123:124]|
	v_add_f64 v[112:113], v[104:105], v[121:122]
	s_delay_alu instid0(VALU_DEP_3) | instskip(SKIP_1) | instid1(VALU_DEP_3)
	v_dual_cndmask_b32 v115, 0, v125 :: v_dual_cndmask_b32 v116, 0, v126
	v_fma_f64 v[98:99], v[96:97], v[98:99], -v[117:118]
	v_add_f64 v[104:105], v[112:113], -v[104:105]
	s_delay_alu instid0(VALU_DEP_2) | instskip(NEXT) | instid1(VALU_DEP_4)
	v_add_f64 v[98:99], v[98:99], v[106:107]
	v_ldexp_f64 v[106:107], v[115:116], 2
	s_delay_alu instid0(VALU_DEP_3) | instskip(NEXT) | instid1(VALU_DEP_2)
	v_add_f64 v[104:105], v[121:122], -v[104:105]
	v_add_f64 v[115:116], v[112:113], v[106:107]
	s_delay_alu instid0(VALU_DEP_2) | instskip(NEXT) | instid1(VALU_DEP_2)
	v_add_f64 v[98:99], v[104:105], v[98:99]
	v_cmp_gt_f64_e32 vcc_lo, 0, v[115:116]
	v_cndmask_b32_e64 v27, 0, 0x40100000, vcc_lo
	s_delay_alu instid0(VALU_DEP_1) | instskip(NEXT) | instid1(VALU_DEP_1)
	v_add_f64 v[106:107], v[106:107], v[26:27]
	v_add_f64 v[115:116], v[112:113], v[106:107]
	s_delay_alu instid0(VALU_DEP_1) | instskip(NEXT) | instid1(VALU_DEP_1)
	v_cvt_i32_f64_e32 v117, v[115:116]
	v_cvt_f64_i32_e32 v[115:116], v117
	s_delay_alu instid0(VALU_DEP_1) | instskip(NEXT) | instid1(VALU_DEP_1)
	v_add_f64 v[106:107], v[106:107], -v[115:116]
	v_add_f64 v[104:105], v[112:113], v[106:107]
	s_delay_alu instid0(VALU_DEP_1) | instskip(SKIP_1) | instid1(VALU_DEP_2)
	v_add_f64 v[106:107], v[104:105], -v[106:107]
	v_cmp_le_f64_e32 vcc_lo, 0.5, v[104:105]
	v_add_f64 v[106:107], v[112:113], -v[106:107]
	v_cndmask_b32_e64 v27, 0, 0x3ff00000, vcc_lo
	v_add_co_ci_u32_e32 v134, vcc_lo, 0, v117, vcc_lo
	s_delay_alu instid0(VALU_DEP_2) | instskip(NEXT) | instid1(VALU_DEP_4)
	v_add_f64 v[104:105], v[104:105], -v[26:27]
	v_add_f64 v[98:99], v[98:99], v[106:107]
	s_delay_alu instid0(VALU_DEP_1) | instskip(NEXT) | instid1(VALU_DEP_1)
	v_add_f64 v[106:107], v[104:105], v[98:99]
	v_add_f64 v[104:105], v[106:107], -v[104:105]
	v_mul_f64 v[112:113], v[106:107], s[94:95]
	s_delay_alu instid0(VALU_DEP_2) | instskip(NEXT) | instid1(VALU_DEP_2)
	v_add_f64 v[98:99], v[98:99], -v[104:105]
	v_fma_f64 v[104:105], v[106:107], s[94:95], -v[112:113]
	s_delay_alu instid0(VALU_DEP_1) | instskip(NEXT) | instid1(VALU_DEP_1)
	v_fma_f64 v[104:105], v[106:107], s[100:101], v[104:105]
	v_fma_f64 v[98:99], v[98:99], s[94:95], v[104:105]
	s_delay_alu instid0(VALU_DEP_1) | instskip(NEXT) | instid1(VALU_DEP_1)
	v_add_f64 v[104:105], v[112:113], v[98:99]
	v_add_f64 v[106:107], v[104:105], -v[112:113]
	s_delay_alu instid0(VALU_DEP_1)
	v_add_f64 v[106:107], v[98:99], -v[106:107]
	s_and_not1_saveexec_b32 s33, s33
	s_cbranch_execz .LBB1_105
	s_branch .LBB1_104
.LBB1_103:                              ;   in Loop: Header=BB1_93 Depth=3
	s_and_not1_saveexec_b32 s33, s33
	s_cbranch_execz .LBB1_105
.LBB1_104:                              ;   in Loop: Header=BB1_93 Depth=3
	v_mul_f64 v[98:99], |v[81:82]|, s[102:103]
	s_mov_b32 s98, s10
	s_delay_alu instid0(VALU_DEP_1) | instskip(NEXT) | instid1(VALU_DEP_1)
	v_rndne_f64_e32 v[98:99], v[98:99]
	v_fma_f64 v[104:105], v[98:99], s[96:97], |v[81:82]|
	v_mul_f64 v[106:107], v[98:99], s[10:11]
	v_cvt_i32_f64_e32 v134, v[98:99]
	s_delay_alu instid0(VALU_DEP_3) | instskip(NEXT) | instid1(VALU_DEP_3)
	v_fma_f64 v[115:116], v[98:99], s[10:11], v[104:105]
	v_add_f64 v[112:113], v[104:105], v[106:107]
	s_delay_alu instid0(VALU_DEP_1) | instskip(NEXT) | instid1(VALU_DEP_3)
	v_add_f64 v[104:105], v[104:105], -v[112:113]
	v_add_f64 v[112:113], v[112:113], -v[115:116]
	s_delay_alu instid0(VALU_DEP_2) | instskip(SKIP_1) | instid1(VALU_DEP_2)
	v_add_f64 v[104:105], v[104:105], v[106:107]
	v_fma_f64 v[106:107], v[98:99], s[98:99], v[106:107]
	v_add_f64 v[104:105], v[112:113], v[104:105]
	s_delay_alu instid0(VALU_DEP_1) | instskip(NEXT) | instid1(VALU_DEP_1)
	v_add_f64 v[104:105], v[104:105], -v[106:107]
	v_fma_f64 v[106:107], v[98:99], s[6:7], v[104:105]
	s_delay_alu instid0(VALU_DEP_1) | instskip(NEXT) | instid1(VALU_DEP_1)
	v_add_f64 v[104:105], v[115:116], v[106:107]
	v_add_f64 v[112:113], v[104:105], -v[115:116]
	s_delay_alu instid0(VALU_DEP_1)
	v_add_f64 v[106:107], v[106:107], -v[112:113]
.LBB1_105:                              ;   in Loop: Header=BB1_93 Depth=3
	s_or_b32 exec_lo, exec_lo, s33
                                        ; implicit-def: $vgpr27
                                        ; implicit-def: $vgpr98_vgpr99
                                        ; implicit-def: $vgpr112_vgpr113
	s_and_saveexec_b32 s33, s1
	s_delay_alu instid0(SALU_CYCLE_1)
	s_xor_b32 s1, exec_lo, s33
	s_cbranch_execz .LBB1_107
; %bb.106:                              ;   in Loop: Header=BB1_93 Depth=3
	v_cmp_le_f64_e64 vcc_lo, 0x7b000000, |v[81:82]|
	s_mov_b32 s94, s96
	s_mov_b32 s101, s99
	s_delay_alu instid0(VALU_DEP_4) | instskip(SKIP_1) | instid1(VALU_DEP_1)
	v_cndmask_b32_e32 v99, v89, v111, vcc_lo
	v_cndmask_b32_e32 v98, v81, v110, vcc_lo
	v_mul_f64 v[110:111], v[108:109], v[98:99]
	v_mul_f64 v[112:113], v[92:93], v[98:99]
	;; [unrolled: 1-line block ×3, first 2 shown]
	s_delay_alu instid0(VALU_DEP_3) | instskip(NEXT) | instid1(VALU_DEP_3)
	v_fma_f64 v[108:109], v[108:109], v[98:99], -v[110:111]
	v_fma_f64 v[92:93], v[92:93], v[98:99], -v[112:113]
	s_delay_alu instid0(VALU_DEP_3) | instskip(NEXT) | instid1(VALU_DEP_3)
	v_fma_f64 v[96:97], v[96:97], v[98:99], -v[115:116]
	v_add_f64 v[117:118], v[112:113], v[108:109]
	s_delay_alu instid0(VALU_DEP_1) | instskip(NEXT) | instid1(VALU_DEP_1)
	v_add_f64 v[98:99], v[117:118], -v[112:113]
	v_add_f64 v[108:109], v[108:109], -v[98:99]
	;; [unrolled: 1-line block ×3, first 2 shown]
	s_delay_alu instid0(VALU_DEP_1) | instskip(SKIP_1) | instid1(VALU_DEP_2)
	v_add_f64 v[98:99], v[112:113], -v[98:99]
	v_add_f64 v[112:113], v[110:111], v[117:118]
	v_add_f64 v[98:99], v[108:109], v[98:99]
	s_delay_alu instid0(VALU_DEP_2) | instskip(SKIP_1) | instid1(VALU_DEP_2)
	v_add_f64 v[110:111], v[112:113], -v[110:111]
	v_ldexp_f64 v[112:113], v[112:113], -2
	v_add_f64 v[110:111], v[117:118], -v[110:111]
	v_add_f64 v[117:118], v[115:116], v[92:93]
	s_delay_alu instid0(VALU_DEP_3) | instskip(SKIP_1) | instid1(VALU_DEP_3)
	v_fract_f64_e32 v[108:109], v[112:113]
	v_cmp_neq_f64_e64 vcc_lo, 0x7ff00000, |v[112:113]|
	v_add_f64 v[112:113], v[117:118], -v[115:116]
	s_delay_alu instid0(VALU_DEP_3) | instskip(NEXT) | instid1(VALU_DEP_1)
	v_dual_cndmask_b32 v109, 0, v109 :: v_dual_cndmask_b32 v108, 0, v108
	v_ldexp_f64 v[108:109], v[108:109], 2
	s_delay_alu instid0(VALU_DEP_3) | instskip(SKIP_1) | instid1(VALU_DEP_1)
	v_add_f64 v[92:93], v[92:93], -v[112:113]
	v_add_f64 v[112:113], v[117:118], -v[112:113]
	;; [unrolled: 1-line block ×3, first 2 shown]
	v_add_f64 v[115:116], v[117:118], v[98:99]
	s_delay_alu instid0(VALU_DEP_2) | instskip(NEXT) | instid1(VALU_DEP_2)
	v_add_f64 v[92:93], v[92:93], v[112:113]
	v_add_f64 v[112:113], v[115:116], -v[117:118]
	s_delay_alu instid0(VALU_DEP_1) | instskip(SKIP_1) | instid1(VALU_DEP_1)
	v_add_f64 v[98:99], v[98:99], -v[112:113]
	v_add_f64 v[112:113], v[115:116], -v[112:113]
	;; [unrolled: 1-line block ×3, first 2 shown]
	v_add_f64 v[117:118], v[110:111], v[115:116]
	s_delay_alu instid0(VALU_DEP_2) | instskip(NEXT) | instid1(VALU_DEP_2)
	v_add_f64 v[98:99], v[98:99], v[112:113]
	v_add_f64 v[119:120], v[117:118], v[108:109]
	v_add_f64 v[110:111], v[117:118], -v[110:111]
	s_delay_alu instid0(VALU_DEP_3) | instskip(NEXT) | instid1(VALU_DEP_3)
	v_add_f64 v[92:93], v[92:93], v[98:99]
	v_cmp_gt_f64_e32 vcc_lo, 0, v[119:120]
	s_delay_alu instid0(VALU_DEP_3) | instskip(NEXT) | instid1(VALU_DEP_3)
	v_add_f64 v[110:111], v[115:116], -v[110:111]
	v_add_f64 v[92:93], v[96:97], v[92:93]
	v_cndmask_b32_e64 v27, 0, 0x40100000, vcc_lo
	s_delay_alu instid0(VALU_DEP_1) | instskip(NEXT) | instid1(VALU_DEP_3)
	v_add_f64 v[108:109], v[108:109], v[26:27]
	v_add_f64 v[92:93], v[110:111], v[92:93]
	s_delay_alu instid0(VALU_DEP_2) | instskip(NEXT) | instid1(VALU_DEP_1)
	v_add_f64 v[112:113], v[117:118], v[108:109]
	v_cvt_i32_f64_e32 v89, v[112:113]
	s_delay_alu instid0(VALU_DEP_1) | instskip(NEXT) | instid1(VALU_DEP_1)
	v_cvt_f64_i32_e32 v[112:113], v89
	v_add_f64 v[108:109], v[108:109], -v[112:113]
	s_delay_alu instid0(VALU_DEP_1) | instskip(NEXT) | instid1(VALU_DEP_1)
	v_add_f64 v[98:99], v[117:118], v[108:109]
	v_add_f64 v[96:97], v[98:99], -v[108:109]
	v_cmp_le_f64_e32 vcc_lo, 0.5, v[98:99]
	s_delay_alu instid0(VALU_DEP_2) | instskip(SKIP_1) | instid1(VALU_DEP_1)
	v_add_f64 v[96:97], v[117:118], -v[96:97]
	v_cndmask_b32_e64 v27, 0, 0x3ff00000, vcc_lo
	v_add_f64 v[98:99], v[98:99], -v[26:27]
	v_add_co_ci_u32_e32 v27, vcc_lo, 0, v89, vcc_lo
	s_delay_alu instid0(VALU_DEP_4) | instskip(NEXT) | instid1(VALU_DEP_1)
	v_add_f64 v[92:93], v[92:93], v[96:97]
	v_add_f64 v[96:97], v[98:99], v[92:93]
	s_delay_alu instid0(VALU_DEP_1) | instskip(SKIP_1) | instid1(VALU_DEP_2)
	v_mul_f64 v[108:109], v[96:97], s[94:95]
	v_add_f64 v[98:99], v[96:97], -v[98:99]
	v_fma_f64 v[110:111], v[96:97], s[94:95], -v[108:109]
	s_delay_alu instid0(VALU_DEP_2) | instskip(NEXT) | instid1(VALU_DEP_2)
	v_add_f64 v[92:93], v[92:93], -v[98:99]
	v_fma_f64 v[96:97], v[96:97], s[100:101], v[110:111]
	s_delay_alu instid0(VALU_DEP_1) | instskip(NEXT) | instid1(VALU_DEP_1)
	v_fma_f64 v[92:93], v[92:93], s[94:95], v[96:97]
	v_add_f64 v[98:99], v[108:109], v[92:93]
	s_delay_alu instid0(VALU_DEP_1) | instskip(NEXT) | instid1(VALU_DEP_1)
	v_add_f64 v[96:97], v[98:99], -v[108:109]
	v_add_f64 v[112:113], v[92:93], -v[96:97]
	s_and_not1_saveexec_b32 s1, s1
	s_cbranch_execnz .LBB1_108
	s_branch .LBB1_109
.LBB1_107:                              ;   in Loop: Header=BB1_93 Depth=3
	s_and_not1_saveexec_b32 s1, s1
	s_cbranch_execz .LBB1_109
.LBB1_108:                              ;   in Loop: Header=BB1_93 Depth=3
	v_mul_f64 v[92:93], |v[81:82]|, s[102:103]
	s_mov_b32 s98, s10
	s_delay_alu instid0(VALU_DEP_1) | instskip(NEXT) | instid1(VALU_DEP_1)
	v_rndne_f64_e32 v[92:93], v[92:93]
	v_fma_f64 v[96:97], v[92:93], s[96:97], |v[81:82]|
	v_mul_f64 v[98:99], v[92:93], s[10:11]
	v_cvt_i32_f64_e32 v27, v[92:93]
	s_delay_alu instid0(VALU_DEP_3) | instskip(NEXT) | instid1(VALU_DEP_3)
	v_fma_f64 v[110:111], v[92:93], s[10:11], v[96:97]
	v_add_f64 v[108:109], v[96:97], v[98:99]
	s_delay_alu instid0(VALU_DEP_1) | instskip(NEXT) | instid1(VALU_DEP_3)
	v_add_f64 v[96:97], v[96:97], -v[108:109]
	v_add_f64 v[108:109], v[108:109], -v[110:111]
	s_delay_alu instid0(VALU_DEP_2) | instskip(SKIP_1) | instid1(VALU_DEP_2)
	v_add_f64 v[96:97], v[96:97], v[98:99]
	v_fma_f64 v[98:99], v[92:93], s[98:99], v[98:99]
	v_add_f64 v[96:97], v[108:109], v[96:97]
	s_delay_alu instid0(VALU_DEP_1) | instskip(NEXT) | instid1(VALU_DEP_1)
	v_add_f64 v[96:97], v[96:97], -v[98:99]
	v_fma_f64 v[96:97], v[92:93], s[6:7], v[96:97]
	s_delay_alu instid0(VALU_DEP_1) | instskip(NEXT) | instid1(VALU_DEP_1)
	v_add_f64 v[98:99], v[110:111], v[96:97]
	v_add_f64 v[108:109], v[98:99], -v[110:111]
	s_delay_alu instid0(VALU_DEP_1)
	v_add_f64 v[112:113], v[96:97], -v[108:109]
.LBB1_109:                              ;   in Loop: Header=BB1_93 Depth=3
	s_or_b32 exec_lo, exec_lo, s1
	v_mul_f64 v[92:93], v[79:80], v[79:80]
	v_mul_f64 v[115:116], v[87:88], 0.5
	s_delay_alu instid0(VALU_DEP_3) | instskip(SKIP_4) | instid1(VALU_DEP_3)
	v_mul_f64 v[121:122], v[112:113], 0.5
	s_mov_b32 s38, s60
	s_mov_b32 s44, s52
	s_mov_b32 s46, s50
	s_mov_b32 s48, s52
                                        ; implicit-def: $vgpr144
	v_mul_f64 v[96:97], v[92:93], 0.5
	v_mul_f64 v[117:118], v[79:80], -v[92:93]
	s_delay_alu instid0(VALU_DEP_2) | instskip(NEXT) | instid1(VALU_DEP_1)
	v_add_f64 v[108:109], -v[96:97], 1.0
	v_add_f64 v[110:111], -v[108:109], 1.0
	s_delay_alu instid0(VALU_DEP_1) | instskip(SKIP_1) | instid1(VALU_DEP_2)
	v_add_f64 v[96:97], v[110:111], -v[96:97]
	v_fma_f64 v[110:111], v[92:93], s[28:29], s[26:27]
	v_fma_f64 v[96:97], v[79:80], -v[87:88], v[96:97]
	s_delay_alu instid0(VALU_DEP_2) | instskip(NEXT) | instid1(VALU_DEP_1)
	v_fma_f64 v[110:111], v[92:93], v[110:111], s[30:31]
	v_fma_f64 v[110:111], v[92:93], v[110:111], s[34:35]
	s_delay_alu instid0(VALU_DEP_1) | instskip(NEXT) | instid1(VALU_DEP_1)
	v_fma_f64 v[110:111], v[92:93], v[110:111], s[36:37]
	v_fma_f64 v[110:111], v[117:118], v[110:111], v[115:116]
	s_delay_alu instid0(VALU_DEP_1) | instskip(SKIP_1) | instid1(VALU_DEP_2)
	v_fma_f64 v[87:88], v[92:93], v[110:111], -v[87:88]
	v_fma_f64 v[110:111], v[92:93], s[16:17], s[14:15]
	v_fma_f64 v[87:88], v[117:118], s[38:39], v[87:88]
	s_delay_alu instid0(VALU_DEP_2) | instskip(NEXT) | instid1(VALU_DEP_2)
	v_fma_f64 v[110:111], v[92:93], v[110:111], s[18:19]
	v_add_f64 v[79:80], v[79:80], -v[87:88]
	s_delay_alu instid0(VALU_DEP_2) | instskip(NEXT) | instid1(VALU_DEP_1)
	v_fma_f64 v[110:111], v[92:93], v[110:111], s[20:21]
	v_fma_f64 v[110:111], v[92:93], v[110:111], s[22:23]
	s_delay_alu instid0(VALU_DEP_1) | instskip(SKIP_1) | instid1(VALU_DEP_1)
	v_fma_f64 v[110:111], v[92:93], v[110:111], s[60:61]
	v_mul_f64 v[92:93], v[92:93], v[92:93]
	v_fma_f64 v[92:93], v[92:93], v[110:111], v[96:97]
	v_mul_f64 v[96:97], v[98:99], v[98:99]
	s_delay_alu instid0(VALU_DEP_2) | instskip(NEXT) | instid1(VALU_DEP_2)
	v_add_f64 v[92:93], v[108:109], v[92:93]
	v_mul_f64 v[110:111], v[96:97], 0.5
	v_mul_f64 v[123:124], v[98:99], -v[96:97]
	v_and_b32_e32 v87, 1, v114
	s_delay_alu instid0(VALU_DEP_1) | instskip(SKIP_1) | instid1(VALU_DEP_1)
	v_cmp_eq_u32_e32 vcc_lo, 0, v87
	v_lshlrev_b32_e32 v87, 30, v114
	v_xor_b32_e32 v78, v87, v78
	s_delay_alu instid0(VALU_DEP_1) | instskip(SKIP_3) | instid1(VALU_DEP_3)
	v_and_b32_e32 v78, 0x80000000, v78
	v_cndmask_b32_e32 v80, v93, v80, vcc_lo
	v_add_f64 v[115:116], -v[110:111], 1.0
	v_cndmask_b32_e32 v79, v92, v79, vcc_lo
	v_xor_b32_e32 v78, v80, v78
	s_delay_alu instid0(VALU_DEP_3) | instskip(NEXT) | instid1(VALU_DEP_1)
	v_add_f64 v[119:120], -v[115:116], 1.0
	v_add_f64 v[110:111], v[119:120], -v[110:111]
	v_fma_f64 v[119:120], v[96:97], s[28:29], s[26:27]
	s_delay_alu instid0(VALU_DEP_2) | instskip(NEXT) | instid1(VALU_DEP_2)
	v_fma_f64 v[110:111], v[98:99], -v[112:113], v[110:111]
	v_fma_f64 v[119:120], v[96:97], v[119:120], s[30:31]
	s_delay_alu instid0(VALU_DEP_1) | instskip(NEXT) | instid1(VALU_DEP_1)
	v_fma_f64 v[119:120], v[96:97], v[119:120], s[34:35]
	v_fma_f64 v[119:120], v[96:97], v[119:120], s[36:37]
	s_delay_alu instid0(VALU_DEP_1) | instskip(NEXT) | instid1(VALU_DEP_1)
	v_fma_f64 v[119:120], v[123:124], v[119:120], v[121:122]
	v_fma_f64 v[112:113], v[96:97], v[119:120], -v[112:113]
	v_fma_f64 v[119:120], v[96:97], s[16:17], s[14:15]
	s_delay_alu instid0(VALU_DEP_1) | instskip(NEXT) | instid1(VALU_DEP_1)
	v_fma_f64 v[119:120], v[96:97], v[119:120], s[18:19]
	v_fma_f64 v[119:120], v[96:97], v[119:120], s[20:21]
	s_delay_alu instid0(VALU_DEP_1) | instskip(NEXT) | instid1(VALU_DEP_1)
	v_fma_f64 v[119:120], v[96:97], v[119:120], s[22:23]
	v_fma_f64 v[119:120], v[96:97], v[119:120], s[60:61]
	v_mul_f64 v[96:97], v[96:97], v[96:97]
	s_delay_alu instid0(VALU_DEP_1) | instskip(SKIP_3) | instid1(VALU_DEP_2)
	v_fma_f64 v[96:97], v[96:97], v[119:120], v[110:111]
	v_cndmask_b32_e64 v110, 0, v79, s0
	v_cndmask_b32_e64 v111, 0x7ff80000, v78, s0
	v_cmp_class_f64_e64 s0, v[81:82], 0x1f8
	v_mul_f64 v[78:79], v[110:111], v[110:111]
	v_cmp_gt_f64_e64 s1, s[12:13], v[110:111]
	s_delay_alu instid0(VALU_DEP_1) | instskip(NEXT) | instid1(VALU_DEP_3)
	v_cndmask_b32_e64 v79, v79, 0x3c9cd2b2, s1
	v_cndmask_b32_e64 v78, v78, 0x97d889bc, s1
	;; [unrolled: 1-line block ×4, first 2 shown]
	s_delay_alu instid0(VALU_DEP_3) | instskip(NEXT) | instid1(VALU_DEP_2)
	v_mul_f64 v[118:119], v[78:79], v[78:79]
	v_mul_f64 v[94:95], -v[110:111], v[94:95]
	s_delay_alu instid0(VALU_DEP_2) | instskip(NEXT) | instid1(VALU_DEP_1)
	v_div_scale_f64 v[78:79], null, v[118:119], v[118:119], v[20:21]
	v_rcp_f64_e32 v[87:88], v[78:79]
	s_waitcnt_depctr 0xfff
	v_fma_f64 v[92:93], -v[78:79], v[87:88], 1.0
	s_delay_alu instid0(VALU_DEP_1) | instskip(NEXT) | instid1(VALU_DEP_1)
	v_fma_f64 v[87:88], v[87:88], v[92:93], v[87:88]
	v_fma_f64 v[92:93], -v[78:79], v[87:88], 1.0
	s_delay_alu instid0(VALU_DEP_1) | instskip(SKIP_1) | instid1(VALU_DEP_1)
	v_fma_f64 v[87:88], v[87:88], v[92:93], v[87:88]
	v_div_scale_f64 v[92:93], vcc_lo, v[20:21], v[118:119], v[20:21]
	v_mul_f64 v[108:109], v[92:93], v[87:88]
	s_delay_alu instid0(VALU_DEP_1) | instskip(NEXT) | instid1(VALU_DEP_1)
	v_fma_f64 v[78:79], -v[78:79], v[108:109], v[92:93]
	v_div_fmas_f64 v[120:121], v[78:79], v[87:88], v[108:109]
	v_fma_f64 v[78:79], v[123:124], s[38:39], v[112:113]
	v_add_f64 v[87:88], v[115:116], v[96:97]
	s_delay_alu instid0(VALU_DEP_2) | instskip(NEXT) | instid1(VALU_DEP_1)
	v_add_f64 v[78:79], v[98:99], -v[78:79]
	v_xor_b32_e32 v79, 0x80000000, v79
	v_and_b32_e32 v80, 1, v27
	v_lshlrev_b32_e32 v27, 30, v27
	s_delay_alu instid0(VALU_DEP_2) | instskip(NEXT) | instid1(VALU_DEP_2)
	v_cmp_eq_u32_e32 vcc_lo, 0, v80
	v_and_b32_e32 v27, 0x80000000, v27
	v_dual_cndmask_b32 v79, v79, v88 :: v_dual_cndmask_b32 v78, v78, v87
	s_delay_alu instid0(VALU_DEP_1) | instskip(NEXT) | instid1(VALU_DEP_2)
	v_xor_b32_e32 v27, v79, v27
	v_cndmask_b32_e64 v114, 0, v78, s0
	v_fma_f64 v[78:79], v[100:101], -2.0, v[102:103]
	s_delay_alu instid0(VALU_DEP_3) | instskip(NEXT) | instid1(VALU_DEP_2)
	v_cndmask_b32_e64 v115, 0x7ff80000, v27, s0
	v_add_f64 v[116:117], v[6:7], v[78:79]
	v_mul_f64 v[78:79], v[52:53], -v[46:47]
	s_delay_alu instid0(VALU_DEP_1) | instskip(NEXT) | instid1(VALU_DEP_1)
	v_fma_f64 v[112:113], v[78:79], s[42:43], v[14:15]
	v_mul_f64 v[80:81], v[116:117], -v[112:113]
	s_delay_alu instid0(VALU_DEP_1) | instskip(NEXT) | instid1(VALU_DEP_1)
	v_mul_f64 v[80:81], v[80:81], v[85:86]
	v_mul_f64 v[108:109], v[52:53], v[80:81]
	v_fma_f64 v[80:81], v[76:77], s[52:53], v[2:3]
	s_delay_alu instid0(VALU_DEP_1) | instskip(SKIP_1) | instid1(VALU_DEP_2)
	v_fma_f64 v[88:89], v[108:109], s[50:51], v[80:81]
	v_mul_f64 v[80:81], v[114:115], v[114:115]
	v_mul_f64 v[92:93], v[88:89], v[88:89]
	s_delay_alu instid0(VALU_DEP_1) | instskip(NEXT) | instid1(VALU_DEP_1)
	v_fma_f64 v[98:99], v[6:7], v[80:81], v[92:93]
	v_div_scale_f64 v[80:81], null, v[98:99], v[98:99], 1.0
	s_delay_alu instid0(VALU_DEP_1) | instskip(SKIP_2) | instid1(VALU_DEP_1)
	v_rcp_f64_e32 v[96:97], v[80:81]
	s_waitcnt_depctr 0xfff
	v_fma_f64 v[122:123], -v[80:81], v[96:97], 1.0
	v_fma_f64 v[96:97], v[96:97], v[122:123], v[96:97]
	s_delay_alu instid0(VALU_DEP_1) | instskip(NEXT) | instid1(VALU_DEP_1)
	v_fma_f64 v[122:123], -v[80:81], v[96:97], 1.0
	v_fma_f64 v[96:97], v[96:97], v[122:123], v[96:97]
	v_div_scale_f64 v[122:123], vcc_lo, 1.0, v[98:99], 1.0
	s_delay_alu instid0(VALU_DEP_1) | instskip(NEXT) | instid1(VALU_DEP_1)
	v_mul_f64 v[124:125], v[122:123], v[96:97]
	v_fma_f64 v[80:81], -v[80:81], v[124:125], v[122:123]
                                        ; implicit-def: $vgpr122_vgpr123
	s_delay_alu instid0(VALU_DEP_1) | instskip(SKIP_1) | instid1(VALU_DEP_1)
	v_div_fmas_f64 v[80:81], v[80:81], v[96:97], v[124:125]
	v_div_fixup_f64 v[96:97], v[120:121], v[118:119], v[20:21]
                                        ; implicit-def: $vgpr124_vgpr125
	v_add_f64 v[96:97], v[96:97], -v[6:7]
	s_delay_alu instid0(VALU_DEP_1) | instskip(NEXT) | instid1(VALU_DEP_1)
	v_mul_f64 v[94:95], v[96:97], v[94:95]
	v_mul_f64 v[96:97], v[94:95], v[85:86]
	v_div_fixup_f64 v[94:95], v[80:81], v[98:99], 1.0
	v_fma_f64 v[80:81], v[74:75], s[52:53], v[16:17]
	s_delay_alu instid0(VALU_DEP_3) | instskip(SKIP_1) | instid1(VALU_DEP_2)
	v_mul_f64 v[110:111], v[52:53], v[96:97]
	v_fma_f64 v[96:97], v[50:51], s[44:45], v[4:5]
	v_fma_f64 v[80:81], v[110:111], s[50:51], v[80:81]
	s_delay_alu instid0(VALU_DEP_2) | instskip(NEXT) | instid1(VALU_DEP_2)
	v_fma_f64 v[96:97], v[90:91], s[46:47], v[96:97]
	v_mul_f64 v[80:81], v[94:95], -v[80:81]
	s_delay_alu instid0(VALU_DEP_1) | instskip(NEXT) | instid1(VALU_DEP_1)
	v_mul_f64 v[80:81], v[52:53], v[80:81]
	v_fma_f64 v[96:97], v[80:81], s[48:49], v[96:97]
	s_delay_alu instid0(VALU_DEP_1) | instskip(NEXT) | instid1(VALU_DEP_2)
	v_and_b32_e32 v87, 0x7fffffff, v97
	v_cmp_ngt_f64_e64 s1, 0x41d00000, |v[96:97]|
	v_trig_preop_f64 v[130:131], |v[96:97]|, 0
	v_trig_preop_f64 v[120:121], |v[96:97]|, 1
	v_ldexp_f64 v[132:133], |v[96:97]|, 0xffffff80
	v_trig_preop_f64 v[126:127], |v[96:97]|, 2
	s_and_saveexec_b32 s33, s1
	s_delay_alu instid0(SALU_CYCLE_1)
	s_xor_b32 s33, exec_lo, s33
	s_cbranch_execz .LBB1_111
; %bb.110:                              ;   in Loop: Header=BB1_93 Depth=3
	v_cmp_le_f64_e64 vcc_lo, 0x7b000000, |v[96:97]|
	s_mov_b32 s94, s96
	s_mov_b32 s101, s99
	s_delay_alu instid0(VALU_DEP_3) | instskip(NEXT) | instid1(VALU_DEP_1)
	v_dual_cndmask_b32 v119, v87, v133 :: v_dual_cndmask_b32 v118, v96, v132
	v_mul_f64 v[122:123], v[130:131], v[118:119]
	v_mul_f64 v[124:125], v[120:121], v[118:119]
	s_delay_alu instid0(VALU_DEP_2) | instskip(NEXT) | instid1(VALU_DEP_1)
	v_fma_f64 v[128:129], v[130:131], v[118:119], -v[122:123]
	v_add_f64 v[135:136], v[124:125], v[128:129]
	s_delay_alu instid0(VALU_DEP_1) | instskip(NEXT) | instid1(VALU_DEP_1)
	v_add_f64 v[137:138], v[135:136], -v[124:125]
	v_add_f64 v[128:129], v[128:129], -v[137:138]
	;; [unrolled: 1-line block ×3, first 2 shown]
	s_delay_alu instid0(VALU_DEP_1) | instskip(SKIP_1) | instid1(VALU_DEP_2)
	v_add_f64 v[137:138], v[124:125], -v[137:138]
	v_fma_f64 v[124:125], v[120:121], v[118:119], -v[124:125]
	v_add_f64 v[128:129], v[128:129], v[137:138]
	v_mul_f64 v[137:138], v[126:127], v[118:119]
	s_delay_alu instid0(VALU_DEP_1) | instskip(SKIP_1) | instid1(VALU_DEP_2)
	v_add_f64 v[139:140], v[137:138], v[124:125]
	v_fma_f64 v[118:119], v[126:127], v[118:119], -v[137:138]
	v_add_f64 v[141:142], v[139:140], -v[137:138]
	s_delay_alu instid0(VALU_DEP_1) | instskip(SKIP_1) | instid1(VALU_DEP_1)
	v_add_f64 v[124:125], v[124:125], -v[141:142]
	v_add_f64 v[141:142], v[139:140], -v[141:142]
	;; [unrolled: 1-line block ×3, first 2 shown]
	s_delay_alu instid0(VALU_DEP_1) | instskip(SKIP_1) | instid1(VALU_DEP_1)
	v_add_f64 v[124:125], v[124:125], v[141:142]
	v_add_f64 v[141:142], v[139:140], v[128:129]
	v_add_f64 v[143:144], v[141:142], -v[139:140]
	s_delay_alu instid0(VALU_DEP_1) | instskip(SKIP_1) | instid1(VALU_DEP_1)
	v_add_f64 v[128:129], v[128:129], -v[143:144]
	v_add_f64 v[143:144], v[141:142], -v[143:144]
	;; [unrolled: 1-line block ×3, first 2 shown]
	v_add_f64 v[143:144], v[122:123], v[135:136]
	s_delay_alu instid0(VALU_DEP_2) | instskip(NEXT) | instid1(VALU_DEP_2)
	v_add_f64 v[128:129], v[128:129], v[139:140]
	v_add_f64 v[122:123], v[143:144], -v[122:123]
	v_ldexp_f64 v[143:144], v[143:144], -2
	s_delay_alu instid0(VALU_DEP_3) | instskip(NEXT) | instid1(VALU_DEP_3)
	v_add_f64 v[124:125], v[124:125], v[128:129]
	v_add_f64 v[122:123], v[135:136], -v[122:123]
	s_delay_alu instid0(VALU_DEP_3) | instskip(SKIP_1) | instid1(VALU_DEP_4)
	v_fract_f64_e32 v[145:146], v[143:144]
	v_cmp_neq_f64_e64 vcc_lo, 0x7ff00000, |v[143:144]|
	v_add_f64 v[118:119], v[118:119], v[124:125]
	s_delay_alu instid0(VALU_DEP_4) | instskip(NEXT) | instid1(VALU_DEP_4)
	v_add_f64 v[128:129], v[122:123], v[141:142]
	v_dual_cndmask_b32 v136, 0, v146 :: v_dual_cndmask_b32 v135, 0, v145
	s_delay_alu instid0(VALU_DEP_1) | instskip(NEXT) | instid1(VALU_DEP_3)
	v_ldexp_f64 v[124:125], v[135:136], 2
	v_add_f64 v[122:123], v[128:129], -v[122:123]
	s_delay_alu instid0(VALU_DEP_2) | instskip(NEXT) | instid1(VALU_DEP_2)
	v_add_f64 v[135:136], v[128:129], v[124:125]
	v_add_f64 v[122:123], v[141:142], -v[122:123]
	s_delay_alu instid0(VALU_DEP_2) | instskip(NEXT) | instid1(VALU_DEP_2)
	v_cmp_gt_f64_e32 vcc_lo, 0, v[135:136]
	v_add_f64 v[118:119], v[122:123], v[118:119]
	v_cndmask_b32_e64 v27, 0, 0x40100000, vcc_lo
	s_delay_alu instid0(VALU_DEP_1) | instskip(NEXT) | instid1(VALU_DEP_1)
	v_add_f64 v[124:125], v[124:125], v[26:27]
	v_add_f64 v[135:136], v[128:129], v[124:125]
	s_delay_alu instid0(VALU_DEP_1) | instskip(NEXT) | instid1(VALU_DEP_1)
	v_cvt_i32_f64_e32 v137, v[135:136]
	v_cvt_f64_i32_e32 v[135:136], v137
	s_delay_alu instid0(VALU_DEP_1) | instskip(NEXT) | instid1(VALU_DEP_1)
	v_add_f64 v[124:125], v[124:125], -v[135:136]
	v_add_f64 v[122:123], v[128:129], v[124:125]
	s_delay_alu instid0(VALU_DEP_1) | instskip(SKIP_1) | instid1(VALU_DEP_2)
	v_add_f64 v[124:125], v[122:123], -v[124:125]
	v_cmp_le_f64_e32 vcc_lo, 0.5, v[122:123]
	v_add_f64 v[124:125], v[128:129], -v[124:125]
	v_cndmask_b32_e64 v27, 0, 0x3ff00000, vcc_lo
	v_add_co_ci_u32_e32 v144, vcc_lo, 0, v137, vcc_lo
	s_delay_alu instid0(VALU_DEP_2) | instskip(NEXT) | instid1(VALU_DEP_4)
	v_add_f64 v[122:123], v[122:123], -v[26:27]
	v_add_f64 v[118:119], v[118:119], v[124:125]
	s_delay_alu instid0(VALU_DEP_1) | instskip(NEXT) | instid1(VALU_DEP_1)
	v_add_f64 v[124:125], v[122:123], v[118:119]
	v_add_f64 v[122:123], v[124:125], -v[122:123]
	v_mul_f64 v[128:129], v[124:125], s[94:95]
	s_delay_alu instid0(VALU_DEP_2) | instskip(NEXT) | instid1(VALU_DEP_2)
	v_add_f64 v[118:119], v[118:119], -v[122:123]
	v_fma_f64 v[122:123], v[124:125], s[94:95], -v[128:129]
	s_delay_alu instid0(VALU_DEP_1) | instskip(NEXT) | instid1(VALU_DEP_1)
	v_fma_f64 v[122:123], v[124:125], s[100:101], v[122:123]
	v_fma_f64 v[118:119], v[118:119], s[94:95], v[122:123]
	s_delay_alu instid0(VALU_DEP_1) | instskip(NEXT) | instid1(VALU_DEP_1)
	v_add_f64 v[122:123], v[128:129], v[118:119]
	v_add_f64 v[124:125], v[122:123], -v[128:129]
	s_delay_alu instid0(VALU_DEP_1)
	v_add_f64 v[124:125], v[118:119], -v[124:125]
	s_and_not1_saveexec_b32 s33, s33
	s_cbranch_execz .LBB1_113
	s_branch .LBB1_112
.LBB1_111:                              ;   in Loop: Header=BB1_93 Depth=3
	s_and_not1_saveexec_b32 s33, s33
	s_cbranch_execz .LBB1_113
.LBB1_112:                              ;   in Loop: Header=BB1_93 Depth=3
	v_mul_f64 v[118:119], |v[96:97]|, s[102:103]
	s_mov_b32 s98, s10
	s_delay_alu instid0(VALU_DEP_1) | instskip(NEXT) | instid1(VALU_DEP_1)
	v_rndne_f64_e32 v[118:119], v[118:119]
	v_fma_f64 v[122:123], v[118:119], s[96:97], |v[96:97]|
	v_mul_f64 v[124:125], v[118:119], s[10:11]
	v_cvt_i32_f64_e32 v144, v[118:119]
	s_delay_alu instid0(VALU_DEP_3) | instskip(NEXT) | instid1(VALU_DEP_3)
	v_fma_f64 v[135:136], v[118:119], s[10:11], v[122:123]
	v_add_f64 v[128:129], v[122:123], v[124:125]
	s_delay_alu instid0(VALU_DEP_1) | instskip(NEXT) | instid1(VALU_DEP_3)
	v_add_f64 v[122:123], v[122:123], -v[128:129]
	v_add_f64 v[128:129], v[128:129], -v[135:136]
	s_delay_alu instid0(VALU_DEP_2) | instskip(SKIP_1) | instid1(VALU_DEP_2)
	v_add_f64 v[122:123], v[122:123], v[124:125]
	v_fma_f64 v[124:125], v[118:119], s[98:99], v[124:125]
	v_add_f64 v[122:123], v[128:129], v[122:123]
	s_delay_alu instid0(VALU_DEP_1) | instskip(NEXT) | instid1(VALU_DEP_1)
	v_add_f64 v[122:123], v[122:123], -v[124:125]
	v_fma_f64 v[124:125], v[118:119], s[6:7], v[122:123]
	s_delay_alu instid0(VALU_DEP_1) | instskip(NEXT) | instid1(VALU_DEP_1)
	v_add_f64 v[122:123], v[135:136], v[124:125]
	v_add_f64 v[128:129], v[122:123], -v[135:136]
	s_delay_alu instid0(VALU_DEP_1)
	v_add_f64 v[124:125], v[124:125], -v[128:129]
.LBB1_113:                              ;   in Loop: Header=BB1_93 Depth=3
	s_or_b32 exec_lo, exec_lo, s33
                                        ; implicit-def: $vgpr27
                                        ; implicit-def: $vgpr118_vgpr119
                                        ; implicit-def: $vgpr128_vgpr129
	s_and_saveexec_b32 s33, s1
	s_delay_alu instid0(SALU_CYCLE_1)
	s_xor_b32 s1, exec_lo, s33
	s_cbranch_execz .LBB1_115
; %bb.114:                              ;   in Loop: Header=BB1_93 Depth=3
	v_cmp_le_f64_e64 vcc_lo, 0x7b000000, |v[96:97]|
	s_mov_b32 s94, s96
	s_mov_b32 s101, s99
	s_delay_alu instid0(VALU_DEP_3) | instskip(NEXT) | instid1(VALU_DEP_1)
	v_dual_cndmask_b32 v119, v87, v133 :: v_dual_cndmask_b32 v118, v96, v132
	v_mul_f64 v[128:129], v[130:131], v[118:119]
	v_mul_f64 v[132:133], v[120:121], v[118:119]
	;; [unrolled: 1-line block ×3, first 2 shown]
	s_delay_alu instid0(VALU_DEP_3) | instskip(NEXT) | instid1(VALU_DEP_3)
	v_fma_f64 v[130:131], v[130:131], v[118:119], -v[128:129]
	v_fma_f64 v[120:121], v[120:121], v[118:119], -v[132:133]
	s_delay_alu instid0(VALU_DEP_3) | instskip(NEXT) | instid1(VALU_DEP_3)
	v_fma_f64 v[118:119], v[126:127], v[118:119], -v[135:136]
	v_add_f64 v[137:138], v[132:133], v[130:131]
	s_delay_alu instid0(VALU_DEP_1) | instskip(NEXT) | instid1(VALU_DEP_1)
	v_add_f64 v[126:127], v[137:138], -v[132:133]
	v_add_f64 v[130:131], v[130:131], -v[126:127]
	;; [unrolled: 1-line block ×3, first 2 shown]
	s_delay_alu instid0(VALU_DEP_1) | instskip(SKIP_1) | instid1(VALU_DEP_2)
	v_add_f64 v[126:127], v[132:133], -v[126:127]
	v_add_f64 v[132:133], v[128:129], v[137:138]
	v_add_f64 v[126:127], v[130:131], v[126:127]
	s_delay_alu instid0(VALU_DEP_2) | instskip(SKIP_1) | instid1(VALU_DEP_2)
	v_add_f64 v[128:129], v[132:133], -v[128:129]
	v_ldexp_f64 v[132:133], v[132:133], -2
	v_add_f64 v[128:129], v[137:138], -v[128:129]
	v_add_f64 v[137:138], v[135:136], v[120:121]
	s_delay_alu instid0(VALU_DEP_3) | instskip(SKIP_1) | instid1(VALU_DEP_3)
	v_fract_f64_e32 v[130:131], v[132:133]
	v_cmp_neq_f64_e64 vcc_lo, 0x7ff00000, |v[132:133]|
	v_add_f64 v[132:133], v[137:138], -v[135:136]
	s_delay_alu instid0(VALU_DEP_3) | instskip(NEXT) | instid1(VALU_DEP_1)
	v_dual_cndmask_b32 v131, 0, v131 :: v_dual_cndmask_b32 v130, 0, v130
	v_ldexp_f64 v[130:131], v[130:131], 2
	s_delay_alu instid0(VALU_DEP_3) | instskip(SKIP_1) | instid1(VALU_DEP_1)
	v_add_f64 v[120:121], v[120:121], -v[132:133]
	v_add_f64 v[132:133], v[137:138], -v[132:133]
	;; [unrolled: 1-line block ×3, first 2 shown]
	v_add_f64 v[135:136], v[137:138], v[126:127]
	s_delay_alu instid0(VALU_DEP_2) | instskip(NEXT) | instid1(VALU_DEP_2)
	v_add_f64 v[120:121], v[120:121], v[132:133]
	v_add_f64 v[132:133], v[135:136], -v[137:138]
	s_delay_alu instid0(VALU_DEP_1) | instskip(SKIP_1) | instid1(VALU_DEP_1)
	v_add_f64 v[126:127], v[126:127], -v[132:133]
	v_add_f64 v[132:133], v[135:136], -v[132:133]
	v_add_f64 v[132:133], v[137:138], -v[132:133]
	v_add_f64 v[137:138], v[128:129], v[135:136]
	s_delay_alu instid0(VALU_DEP_2) | instskip(NEXT) | instid1(VALU_DEP_2)
	v_add_f64 v[126:127], v[126:127], v[132:133]
	v_add_f64 v[139:140], v[137:138], v[130:131]
	v_add_f64 v[128:129], v[137:138], -v[128:129]
	s_delay_alu instid0(VALU_DEP_3) | instskip(NEXT) | instid1(VALU_DEP_3)
	v_add_f64 v[120:121], v[120:121], v[126:127]
	v_cmp_gt_f64_e32 vcc_lo, 0, v[139:140]
	s_delay_alu instid0(VALU_DEP_3) | instskip(NEXT) | instid1(VALU_DEP_3)
	v_add_f64 v[128:129], v[135:136], -v[128:129]
	v_add_f64 v[118:119], v[118:119], v[120:121]
	v_cndmask_b32_e64 v27, 0, 0x40100000, vcc_lo
	s_delay_alu instid0(VALU_DEP_1) | instskip(NEXT) | instid1(VALU_DEP_3)
	v_add_f64 v[130:131], v[130:131], v[26:27]
	v_add_f64 v[118:119], v[128:129], v[118:119]
	s_delay_alu instid0(VALU_DEP_2) | instskip(NEXT) | instid1(VALU_DEP_1)
	v_add_f64 v[132:133], v[137:138], v[130:131]
	v_cvt_i32_f64_e32 v87, v[132:133]
	s_delay_alu instid0(VALU_DEP_1) | instskip(NEXT) | instid1(VALU_DEP_1)
	v_cvt_f64_i32_e32 v[132:133], v87
	v_add_f64 v[130:131], v[130:131], -v[132:133]
	s_delay_alu instid0(VALU_DEP_1) | instskip(NEXT) | instid1(VALU_DEP_1)
	v_add_f64 v[126:127], v[137:138], v[130:131]
	v_add_f64 v[120:121], v[126:127], -v[130:131]
	v_cmp_le_f64_e32 vcc_lo, 0.5, v[126:127]
	s_delay_alu instid0(VALU_DEP_2) | instskip(SKIP_1) | instid1(VALU_DEP_1)
	v_add_f64 v[120:121], v[137:138], -v[120:121]
	v_cndmask_b32_e64 v27, 0, 0x3ff00000, vcc_lo
	v_add_f64 v[126:127], v[126:127], -v[26:27]
	v_add_co_ci_u32_e32 v27, vcc_lo, 0, v87, vcc_lo
	s_delay_alu instid0(VALU_DEP_4) | instskip(NEXT) | instid1(VALU_DEP_1)
	v_add_f64 v[118:119], v[118:119], v[120:121]
	v_add_f64 v[120:121], v[126:127], v[118:119]
	s_delay_alu instid0(VALU_DEP_1) | instskip(SKIP_1) | instid1(VALU_DEP_2)
	v_mul_f64 v[128:129], v[120:121], s[94:95]
	v_add_f64 v[126:127], v[120:121], -v[126:127]
	v_fma_f64 v[130:131], v[120:121], s[94:95], -v[128:129]
	s_delay_alu instid0(VALU_DEP_2) | instskip(NEXT) | instid1(VALU_DEP_2)
	v_add_f64 v[118:119], v[118:119], -v[126:127]
	v_fma_f64 v[120:121], v[120:121], s[100:101], v[130:131]
	s_delay_alu instid0(VALU_DEP_1) | instskip(NEXT) | instid1(VALU_DEP_1)
	v_fma_f64 v[120:121], v[118:119], s[94:95], v[120:121]
	v_add_f64 v[118:119], v[128:129], v[120:121]
	s_delay_alu instid0(VALU_DEP_1) | instskip(NEXT) | instid1(VALU_DEP_1)
	v_add_f64 v[126:127], v[118:119], -v[128:129]
	v_add_f64 v[128:129], v[120:121], -v[126:127]
	s_and_not1_saveexec_b32 s1, s1
	s_cbranch_execnz .LBB1_116
	s_branch .LBB1_117
.LBB1_115:                              ;   in Loop: Header=BB1_93 Depth=3
	s_and_not1_saveexec_b32 s1, s1
	s_cbranch_execz .LBB1_117
.LBB1_116:                              ;   in Loop: Header=BB1_93 Depth=3
	v_mul_f64 v[118:119], |v[96:97]|, s[102:103]
	s_mov_b32 s98, s10
	s_delay_alu instid0(VALU_DEP_1) | instskip(NEXT) | instid1(VALU_DEP_1)
	v_rndne_f64_e32 v[120:121], v[118:119]
	v_fma_f64 v[118:119], v[120:121], s[96:97], |v[96:97]|
	v_mul_f64 v[126:127], v[120:121], s[10:11]
	v_cvt_i32_f64_e32 v27, v[120:121]
	s_delay_alu instid0(VALU_DEP_3) | instskip(NEXT) | instid1(VALU_DEP_3)
	v_fma_f64 v[130:131], v[120:121], s[10:11], v[118:119]
	v_add_f64 v[128:129], v[118:119], v[126:127]
	s_delay_alu instid0(VALU_DEP_1) | instskip(NEXT) | instid1(VALU_DEP_3)
	v_add_f64 v[118:119], v[118:119], -v[128:129]
	v_add_f64 v[128:129], v[128:129], -v[130:131]
	s_delay_alu instid0(VALU_DEP_2) | instskip(SKIP_1) | instid1(VALU_DEP_2)
	v_add_f64 v[118:119], v[118:119], v[126:127]
	v_fma_f64 v[126:127], v[120:121], s[98:99], v[126:127]
	v_add_f64 v[118:119], v[128:129], v[118:119]
	s_delay_alu instid0(VALU_DEP_1) | instskip(NEXT) | instid1(VALU_DEP_1)
	v_add_f64 v[118:119], v[118:119], -v[126:127]
	v_fma_f64 v[126:127], v[120:121], s[6:7], v[118:119]
	s_delay_alu instid0(VALU_DEP_1) | instskip(NEXT) | instid1(VALU_DEP_1)
	v_add_f64 v[118:119], v[130:131], v[126:127]
	v_add_f64 v[128:129], v[118:119], -v[130:131]
	s_delay_alu instid0(VALU_DEP_1)
	v_add_f64 v[128:129], v[126:127], -v[128:129]
.LBB1_117:                              ;   in Loop: Header=BB1_93 Depth=3
	s_or_b32 exec_lo, exec_lo, s1
	v_add_f64 v[120:121], v[100:101], -1.0
	v_add_f64 v[100:101], v[100:101], v[100:101]
	v_add_f64 v[102:103], v[6:7], v[102:103]
	v_mul_f64 v[135:136], v[106:107], 0.5
	v_mul_f64 v[141:142], v[128:129], 0.5
	v_mul_f64 v[83:84], v[116:117], v[83:84]
	s_mov_b32 s38, s60
	v_and_b32_e32 v87, 1, v134
	s_mov_b32 s44, s52
	s_mov_b32 s46, s50
	;; [unrolled: 1-line block ×4, first 2 shown]
                                        ; implicit-def: $vgpr160
	v_mul_f64 v[126:127], v[22:23], v[120:121]
	s_delay_alu instid0(VALU_DEP_3) | instskip(NEXT) | instid1(VALU_DEP_2)
	v_div_scale_f64 v[116:117], null, v[83:84], v[83:84], 1.0
	v_fma_f64 v[100:101], v[100:101], v[102:103], -v[126:127]
	v_mul_f64 v[102:103], v[104:105], v[104:105]
	s_delay_alu instid0(VALU_DEP_2) | instskip(NEXT) | instid1(VALU_DEP_2)
	v_add_f64 v[100:101], v[100:101], -v[28:29]
	v_mul_f64 v[126:127], v[102:103], 0.5
	v_mul_f64 v[137:138], v[104:105], -v[102:103]
	s_delay_alu instid0(VALU_DEP_2) | instskip(NEXT) | instid1(VALU_DEP_1)
	v_add_f64 v[130:131], -v[126:127], 1.0
	v_add_f64 v[132:133], -v[130:131], 1.0
	s_delay_alu instid0(VALU_DEP_1) | instskip(SKIP_1) | instid1(VALU_DEP_2)
	v_add_f64 v[126:127], v[132:133], -v[126:127]
	v_fma_f64 v[132:133], v[102:103], s[28:29], s[26:27]
	v_fma_f64 v[126:127], v[104:105], -v[106:107], v[126:127]
	s_delay_alu instid0(VALU_DEP_2) | instskip(NEXT) | instid1(VALU_DEP_1)
	v_fma_f64 v[132:133], v[102:103], v[132:133], s[30:31]
	v_fma_f64 v[132:133], v[102:103], v[132:133], s[34:35]
	s_delay_alu instid0(VALU_DEP_1) | instskip(NEXT) | instid1(VALU_DEP_1)
	v_fma_f64 v[132:133], v[102:103], v[132:133], s[36:37]
	v_fma_f64 v[132:133], v[137:138], v[132:133], v[135:136]
	s_delay_alu instid0(VALU_DEP_1) | instskip(SKIP_1) | instid1(VALU_DEP_1)
	v_fma_f64 v[106:107], v[102:103], v[132:133], -v[106:107]
	v_fma_f64 v[132:133], v[102:103], s[16:17], s[14:15]
	v_fma_f64 v[132:133], v[102:103], v[132:133], s[18:19]
	s_delay_alu instid0(VALU_DEP_1) | instskip(NEXT) | instid1(VALU_DEP_1)
	v_fma_f64 v[132:133], v[102:103], v[132:133], s[20:21]
	v_fma_f64 v[132:133], v[102:103], v[132:133], s[22:23]
	s_delay_alu instid0(VALU_DEP_1) | instskip(SKIP_1) | instid1(VALU_DEP_1)
	v_fma_f64 v[132:133], v[102:103], v[132:133], s[60:61]
	v_mul_f64 v[102:103], v[102:103], v[102:103]
	v_fma_f64 v[102:103], v[102:103], v[132:133], v[126:127]
	v_mul_f64 v[126:127], v[118:119], v[118:119]
	s_delay_alu instid0(VALU_DEP_1) | instskip(SKIP_1) | instid1(VALU_DEP_2)
	v_mul_f64 v[132:133], v[126:127], 0.5
	v_mul_f64 v[145:146], v[118:119], -v[126:127]
	v_add_f64 v[135:136], -v[132:133], 1.0
	s_delay_alu instid0(VALU_DEP_1) | instskip(NEXT) | instid1(VALU_DEP_1)
	v_add_f64 v[139:140], -v[135:136], 1.0
	v_add_f64 v[132:133], v[139:140], -v[132:133]
	v_fma_f64 v[139:140], v[126:127], s[28:29], s[26:27]
	s_delay_alu instid0(VALU_DEP_2) | instskip(NEXT) | instid1(VALU_DEP_2)
	v_fma_f64 v[132:133], v[118:119], -v[128:129], v[132:133]
	v_fma_f64 v[139:140], v[126:127], v[139:140], s[30:31]
	s_delay_alu instid0(VALU_DEP_1) | instskip(NEXT) | instid1(VALU_DEP_1)
	v_fma_f64 v[139:140], v[126:127], v[139:140], s[34:35]
	v_fma_f64 v[139:140], v[126:127], v[139:140], s[36:37]
	s_delay_alu instid0(VALU_DEP_1) | instskip(NEXT) | instid1(VALU_DEP_1)
	v_fma_f64 v[139:140], v[145:146], v[139:140], v[141:142]
	v_fma_f64 v[128:129], v[126:127], v[139:140], -v[128:129]
	v_fma_f64 v[139:140], v[126:127], s[16:17], s[14:15]
	s_delay_alu instid0(VALU_DEP_1) | instskip(NEXT) | instid1(VALU_DEP_1)
	v_fma_f64 v[139:140], v[126:127], v[139:140], s[18:19]
	v_fma_f64 v[139:140], v[126:127], v[139:140], s[20:21]
	s_delay_alu instid0(VALU_DEP_1) | instskip(NEXT) | instid1(VALU_DEP_1)
	v_fma_f64 v[139:140], v[126:127], v[139:140], s[22:23]
	v_fma_f64 v[139:140], v[126:127], v[139:140], s[60:61]
	v_mul_f64 v[126:127], v[126:127], v[126:127]
	s_delay_alu instid0(VALU_DEP_1) | instskip(SKIP_3) | instid1(VALU_DEP_1)
	v_fma_f64 v[126:127], v[126:127], v[139:140], v[132:133]
	v_rcp_f64_e32 v[132:133], v[116:117]
	s_waitcnt_depctr 0xfff
	v_fma_f64 v[139:140], -v[116:117], v[132:133], 1.0
	v_fma_f64 v[132:133], v[132:133], v[139:140], v[132:133]
	s_delay_alu instid0(VALU_DEP_1) | instskip(NEXT) | instid1(VALU_DEP_1)
	v_fma_f64 v[139:140], -v[116:117], v[132:133], 1.0
	v_fma_f64 v[132:133], v[132:133], v[139:140], v[132:133]
	v_div_scale_f64 v[139:140], vcc_lo, 1.0, v[83:84], 1.0
	s_delay_alu instid0(VALU_DEP_1) | instskip(NEXT) | instid1(VALU_DEP_1)
	v_mul_f64 v[141:142], v[139:140], v[132:133]
	v_fma_f64 v[116:117], -v[116:117], v[141:142], v[139:140]
	s_delay_alu instid0(VALU_DEP_1) | instskip(SKIP_3) | instid1(VALU_DEP_1)
	v_div_fmas_f64 v[116:117], v[116:117], v[132:133], v[141:142]
	v_add_f64 v[132:133], v[112:113], v[112:113]
	v_cmp_eq_u32_e32 vcc_lo, 0, v87
	v_lshlrev_b32_e32 v87, 30, v134
	v_xor_b32_e32 v82, v87, v82
	s_delay_alu instid0(VALU_DEP_1) | instskip(SKIP_2) | instid1(VALU_DEP_1)
	v_and_b32_e32 v82, 0x80000000, v82
	v_div_fixup_f64 v[83:84], v[116:117], v[83:84], 1.0
	v_mul_f64 v[112:113], v[112:113], v[132:133]
	v_mul_f64 v[112:113], v[120:121], v[112:113]
	s_delay_alu instid0(VALU_DEP_1) | instskip(NEXT) | instid1(VALU_DEP_1)
	v_mul_f64 v[85:86], v[112:113], v[85:86]
	v_fma_f64 v[83:84], v[100:101], v[83:84], -v[85:86]
	v_fma_f64 v[85:86], v[137:138], s[38:39], v[106:107]
	v_add_f64 v[100:101], v[130:131], v[102:103]
	s_delay_alu instid0(VALU_DEP_3) | instskip(NEXT) | instid1(VALU_DEP_3)
	v_mul_f64 v[112:113], v[52:53], -v[83:84]
	v_add_f64 v[85:86], v[104:105], -v[85:86]
	s_delay_alu instid0(VALU_DEP_1) | instskip(NEXT) | instid1(VALU_DEP_1)
	v_dual_cndmask_b32 v85, v100, v85 :: v_dual_cndmask_b32 v86, v101, v86
	v_cndmask_b32_e64 v116, 0, v85, s0
	s_delay_alu instid0(VALU_DEP_2) | instskip(NEXT) | instid1(VALU_DEP_1)
	v_xor_b32_e32 v82, v86, v82
	v_cndmask_b32_e64 v117, 0x7ff80000, v82, s0
	v_cmp_class_f64_e64 s0, v[96:97], 0x1f8
	s_delay_alu instid0(VALU_DEP_2) | instskip(SKIP_1) | instid1(VALU_DEP_1)
	v_mul_f64 v[85:86], v[116:117], v[116:117]
	v_cmp_gt_f64_e64 s1, s[12:13], v[116:117]
	v_cndmask_b32_e64 v101, v86, 0x3c9cd2b2, s1
	s_delay_alu instid0(VALU_DEP_3) | instskip(SKIP_2) | instid1(VALU_DEP_3)
	v_cndmask_b32_e64 v100, v85, 0x97d889bc, s1
	v_cndmask_b32_e64 v117, v117, 0x3e45798e, s1
	;; [unrolled: 1-line block ×3, first 2 shown]
	v_mul_f64 v[120:121], v[100:101], v[100:101]
	s_delay_alu instid0(VALU_DEP_2) | instskip(NEXT) | instid1(VALU_DEP_2)
	v_mul_f64 v[114:115], -v[116:117], v[114:115]
	v_div_scale_f64 v[85:86], null, v[120:121], v[120:121], v[20:21]
	s_delay_alu instid0(VALU_DEP_1) | instskip(SKIP_2) | instid1(VALU_DEP_1)
	v_rcp_f64_e32 v[102:103], v[85:86]
	s_waitcnt_depctr 0xfff
	v_fma_f64 v[104:105], -v[85:86], v[102:103], 1.0
	v_fma_f64 v[102:103], v[102:103], v[104:105], v[102:103]
	s_delay_alu instid0(VALU_DEP_1) | instskip(NEXT) | instid1(VALU_DEP_1)
	v_fma_f64 v[104:105], -v[85:86], v[102:103], 1.0
	v_fma_f64 v[102:103], v[102:103], v[104:105], v[102:103]
	v_div_scale_f64 v[104:105], vcc_lo, v[20:21], v[120:121], v[20:21]
	s_delay_alu instid0(VALU_DEP_1) | instskip(NEXT) | instid1(VALU_DEP_1)
	v_mul_f64 v[106:107], v[104:105], v[102:103]
	v_fma_f64 v[85:86], -v[85:86], v[106:107], v[104:105]
	s_delay_alu instid0(VALU_DEP_1) | instskip(SKIP_2) | instid1(VALU_DEP_2)
	v_div_fmas_f64 v[132:133], v[85:86], v[102:103], v[106:107]
	v_fma_f64 v[85:86], v[145:146], s[38:39], v[128:129]
	v_add_f64 v[102:103], v[135:136], v[126:127]
	v_add_f64 v[85:86], v[118:119], -v[85:86]
	v_and_b32_e32 v82, 1, v27
	v_lshlrev_b32_e32 v27, 30, v27
	s_delay_alu instid0(VALU_DEP_2) | instskip(NEXT) | instid1(VALU_DEP_2)
	v_cmp_eq_u32_e32 vcc_lo, 0, v82
	v_and_b32_e32 v27, 0x80000000, v27
	v_cndmask_b32_e32 v85, v85, v102, vcc_lo
	v_xor_b32_e32 v82, 0x80000000, v86
	s_delay_alu instid0(VALU_DEP_2) | instskip(NEXT) | instid1(VALU_DEP_2)
	v_cndmask_b32_e64 v130, 0, v85, s0
	v_cndmask_b32_e32 v82, v82, v103, vcc_lo
	v_fma_f64 v[85:86], v[88:89], -2.0, v[92:93]
	s_delay_alu instid0(VALU_DEP_2) | instskip(SKIP_1) | instid1(VALU_DEP_2)
	v_xor_b32_e32 v27, v82, v27
	v_fma_f64 v[82:83], v[78:79], s[52:53], v[14:15]
	v_cndmask_b32_e64 v131, 0x7ff80000, v27, s0
	s_delay_alu instid0(VALU_DEP_4) | instskip(SKIP_1) | instid1(VALU_DEP_4)
	v_add_f64 v[128:129], v[6:7], v[85:86]
	v_fma_f64 v[84:85], v[76:77], s[44:45], v[2:3]
	v_fma_f64 v[126:127], v[112:113], s[50:51], v[82:83]
	s_delay_alu instid0(VALU_DEP_2) | instskip(NEXT) | instid1(VALU_DEP_2)
	v_fma_f64 v[84:85], v[108:109], s[46:47], v[84:85]
	v_mul_f64 v[82:83], v[128:129], -v[126:127]
	s_delay_alu instid0(VALU_DEP_1) | instskip(NEXT) | instid1(VALU_DEP_1)
	v_mul_f64 v[82:83], v[82:83], v[94:95]
	v_mul_f64 v[86:87], v[52:53], v[82:83]
	;; [unrolled: 1-line block ×3, first 2 shown]
	s_delay_alu instid0(VALU_DEP_2) | instskip(NEXT) | instid1(VALU_DEP_1)
	v_fma_f64 v[102:103], v[86:87], s[48:49], v[84:85]
	v_mul_f64 v[104:105], v[102:103], v[102:103]
	s_delay_alu instid0(VALU_DEP_1) | instskip(NEXT) | instid1(VALU_DEP_1)
	v_fma_f64 v[106:107], v[6:7], v[82:83], v[104:105]
	v_div_scale_f64 v[82:83], null, v[106:107], v[106:107], 1.0
	s_delay_alu instid0(VALU_DEP_1) | instskip(SKIP_2) | instid1(VALU_DEP_1)
	v_rcp_f64_e32 v[84:85], v[82:83]
	s_waitcnt_depctr 0xfff
	v_fma_f64 v[118:119], -v[82:83], v[84:85], 1.0
	v_fma_f64 v[84:85], v[84:85], v[118:119], v[84:85]
	s_delay_alu instid0(VALU_DEP_1) | instskip(NEXT) | instid1(VALU_DEP_1)
	v_fma_f64 v[118:119], -v[82:83], v[84:85], 1.0
	v_fma_f64 v[84:85], v[84:85], v[118:119], v[84:85]
	v_div_scale_f64 v[118:119], vcc_lo, 1.0, v[106:107], 1.0
	s_delay_alu instid0(VALU_DEP_1) | instskip(NEXT) | instid1(VALU_DEP_1)
	v_mul_f64 v[134:135], v[118:119], v[84:85]
	v_fma_f64 v[82:83], -v[82:83], v[134:135], v[118:119]
                                        ; implicit-def: $vgpr118_vgpr119
	s_delay_alu instid0(VALU_DEP_1) | instskip(SKIP_1) | instid1(VALU_DEP_2)
	v_div_fmas_f64 v[84:85], v[82:83], v[84:85], v[134:135]
	v_div_fixup_f64 v[82:83], v[132:133], v[120:121], v[20:21]
	v_div_fixup_f64 v[120:121], v[84:85], v[106:107], 1.0
	s_delay_alu instid0(VALU_DEP_2) | instskip(SKIP_1) | instid1(VALU_DEP_2)
	v_add_f64 v[82:83], v[82:83], -v[6:7]
	v_fma_f64 v[84:85], v[50:51], s[54:55], v[4:5]
	v_mul_f64 v[82:83], v[82:83], v[114:115]
	v_fma_f64 v[114:115], v[74:75], s[44:45], v[16:17]
	s_delay_alu instid0(VALU_DEP_3) | instskip(NEXT) | instid1(VALU_DEP_3)
	v_fma_f64 v[84:85], 0x40040000, v[90:91], v[84:85]
	v_mul_f64 v[82:83], v[82:83], v[94:95]
	s_delay_alu instid0(VALU_DEP_3) | instskip(NEXT) | instid1(VALU_DEP_3)
	v_fma_f64 v[114:115], v[110:111], s[46:47], v[114:115]
	v_fma_f64 v[116:117], v[80:81], s[56:57], v[84:85]
	s_delay_alu instid0(VALU_DEP_3) | instskip(NEXT) | instid1(VALU_DEP_1)
	v_mul_f64 v[82:83], v[52:53], v[82:83]
	v_fma_f64 v[114:115], v[82:83], s[48:49], v[114:115]
	s_delay_alu instid0(VALU_DEP_1) | instskip(NEXT) | instid1(VALU_DEP_1)
	v_mul_f64 v[114:115], v[120:121], -v[114:115]
	v_mul_f64 v[84:85], v[52:53], v[114:115]
	s_delay_alu instid0(VALU_DEP_1) | instskip(NEXT) | instid1(VALU_DEP_1)
	v_fma_f64 v[114:115], v[84:85], s[66:67], v[116:117]
                                        ; implicit-def: $vgpr116_vgpr117
	v_cmp_ngt_f64_e64 s1, 0x41d00000, |v[114:115]|
	v_trig_preop_f64 v[140:141], |v[114:115]|, 0
	v_trig_preop_f64 v[136:137], |v[114:115]|, 1
	v_ldexp_f64 v[142:143], |v[114:115]|, 0xffffff80
	v_trig_preop_f64 v[138:139], |v[114:115]|, 2
	v_and_b32_e32 v96, 0x7fffffff, v115
	s_and_saveexec_b32 s33, s1
	s_delay_alu instid0(SALU_CYCLE_1)
	s_xor_b32 s33, exec_lo, s33
	s_cbranch_execz .LBB1_119
; %bb.118:                              ;   in Loop: Header=BB1_93 Depth=3
	v_cmp_le_f64_e64 vcc_lo, 0x7b000000, |v[114:115]|
	s_mov_b32 s94, s96
	s_mov_b32 s101, s99
	s_delay_alu instid0(VALU_DEP_4) | instskip(NEXT) | instid1(VALU_DEP_1)
	v_dual_cndmask_b32 v117, v96, v143 :: v_dual_cndmask_b32 v116, v114, v142
	v_mul_f64 v[118:119], v[140:141], v[116:117]
	v_mul_f64 v[132:133], v[136:137], v[116:117]
	s_delay_alu instid0(VALU_DEP_2) | instskip(NEXT) | instid1(VALU_DEP_1)
	v_fma_f64 v[134:135], v[140:141], v[116:117], -v[118:119]
	v_add_f64 v[145:146], v[132:133], v[134:135]
	s_delay_alu instid0(VALU_DEP_1) | instskip(NEXT) | instid1(VALU_DEP_1)
	v_add_f64 v[147:148], v[145:146], -v[132:133]
	v_add_f64 v[134:135], v[134:135], -v[147:148]
	;; [unrolled: 1-line block ×3, first 2 shown]
	s_delay_alu instid0(VALU_DEP_1) | instskip(SKIP_1) | instid1(VALU_DEP_2)
	v_add_f64 v[147:148], v[132:133], -v[147:148]
	v_fma_f64 v[132:133], v[136:137], v[116:117], -v[132:133]
	v_add_f64 v[134:135], v[134:135], v[147:148]
	v_mul_f64 v[147:148], v[138:139], v[116:117]
	s_delay_alu instid0(VALU_DEP_1) | instskip(SKIP_1) | instid1(VALU_DEP_2)
	v_add_f64 v[149:150], v[147:148], v[132:133]
	v_fma_f64 v[116:117], v[138:139], v[116:117], -v[147:148]
	v_add_f64 v[151:152], v[149:150], -v[147:148]
	s_delay_alu instid0(VALU_DEP_1) | instskip(SKIP_1) | instid1(VALU_DEP_1)
	v_add_f64 v[132:133], v[132:133], -v[151:152]
	v_add_f64 v[151:152], v[149:150], -v[151:152]
	;; [unrolled: 1-line block ×3, first 2 shown]
	s_delay_alu instid0(VALU_DEP_1) | instskip(SKIP_1) | instid1(VALU_DEP_1)
	v_add_f64 v[132:133], v[132:133], v[151:152]
	v_add_f64 v[151:152], v[149:150], v[134:135]
	v_add_f64 v[153:154], v[151:152], -v[149:150]
	s_delay_alu instid0(VALU_DEP_1) | instskip(SKIP_1) | instid1(VALU_DEP_1)
	v_add_f64 v[134:135], v[134:135], -v[153:154]
	v_add_f64 v[153:154], v[151:152], -v[153:154]
	;; [unrolled: 1-line block ×3, first 2 shown]
	v_add_f64 v[153:154], v[118:119], v[145:146]
	s_delay_alu instid0(VALU_DEP_2) | instskip(NEXT) | instid1(VALU_DEP_2)
	v_add_f64 v[134:135], v[134:135], v[149:150]
	v_add_f64 v[118:119], v[153:154], -v[118:119]
	v_ldexp_f64 v[153:154], v[153:154], -2
	s_delay_alu instid0(VALU_DEP_3) | instskip(NEXT) | instid1(VALU_DEP_3)
	v_add_f64 v[132:133], v[132:133], v[134:135]
	v_add_f64 v[118:119], v[145:146], -v[118:119]
	s_delay_alu instid0(VALU_DEP_3) | instskip(SKIP_1) | instid1(VALU_DEP_4)
	v_fract_f64_e32 v[155:156], v[153:154]
	v_cmp_neq_f64_e64 vcc_lo, 0x7ff00000, |v[153:154]|
	v_add_f64 v[116:117], v[116:117], v[132:133]
	s_delay_alu instid0(VALU_DEP_4) | instskip(NEXT) | instid1(VALU_DEP_4)
	v_add_f64 v[134:135], v[118:119], v[151:152]
	v_dual_cndmask_b32 v146, 0, v156 :: v_dual_cndmask_b32 v145, 0, v155
	s_delay_alu instid0(VALU_DEP_1) | instskip(NEXT) | instid1(VALU_DEP_3)
	v_ldexp_f64 v[132:133], v[145:146], 2
	v_add_f64 v[118:119], v[134:135], -v[118:119]
	s_delay_alu instid0(VALU_DEP_2) | instskip(NEXT) | instid1(VALU_DEP_2)
	v_add_f64 v[145:146], v[134:135], v[132:133]
	v_add_f64 v[118:119], v[151:152], -v[118:119]
	s_delay_alu instid0(VALU_DEP_2) | instskip(NEXT) | instid1(VALU_DEP_2)
	v_cmp_gt_f64_e32 vcc_lo, 0, v[145:146]
	v_add_f64 v[116:117], v[118:119], v[116:117]
	v_cndmask_b32_e64 v27, 0, 0x40100000, vcc_lo
	s_delay_alu instid0(VALU_DEP_1) | instskip(NEXT) | instid1(VALU_DEP_1)
	v_add_f64 v[132:133], v[132:133], v[26:27]
	v_add_f64 v[145:146], v[134:135], v[132:133]
	s_delay_alu instid0(VALU_DEP_1) | instskip(NEXT) | instid1(VALU_DEP_1)
	v_cvt_i32_f64_e32 v147, v[145:146]
	v_cvt_f64_i32_e32 v[145:146], v147
	s_delay_alu instid0(VALU_DEP_1) | instskip(NEXT) | instid1(VALU_DEP_1)
	v_add_f64 v[132:133], v[132:133], -v[145:146]
	v_add_f64 v[118:119], v[134:135], v[132:133]
	s_delay_alu instid0(VALU_DEP_1) | instskip(SKIP_1) | instid1(VALU_DEP_2)
	v_add_f64 v[132:133], v[118:119], -v[132:133]
	v_cmp_le_f64_e32 vcc_lo, 0.5, v[118:119]
	v_add_f64 v[132:133], v[134:135], -v[132:133]
	v_cndmask_b32_e64 v27, 0, 0x3ff00000, vcc_lo
	v_add_co_ci_u32_e32 v160, vcc_lo, 0, v147, vcc_lo
	s_delay_alu instid0(VALU_DEP_2) | instskip(NEXT) | instid1(VALU_DEP_4)
	v_add_f64 v[118:119], v[118:119], -v[26:27]
	v_add_f64 v[116:117], v[116:117], v[132:133]
	s_delay_alu instid0(VALU_DEP_1) | instskip(NEXT) | instid1(VALU_DEP_1)
	v_add_f64 v[132:133], v[118:119], v[116:117]
	v_add_f64 v[118:119], v[132:133], -v[118:119]
	s_delay_alu instid0(VALU_DEP_1) | instskip(SKIP_1) | instid1(VALU_DEP_1)
	v_add_f64 v[116:117], v[116:117], -v[118:119]
	v_mul_f64 v[118:119], v[132:133], s[94:95]
	v_fma_f64 v[134:135], v[132:133], s[94:95], -v[118:119]
	s_delay_alu instid0(VALU_DEP_1) | instskip(NEXT) | instid1(VALU_DEP_1)
	v_fma_f64 v[132:133], v[132:133], s[100:101], v[134:135]
	v_fma_f64 v[132:133], v[116:117], s[94:95], v[132:133]
	s_delay_alu instid0(VALU_DEP_1) | instskip(NEXT) | instid1(VALU_DEP_1)
	v_add_f64 v[116:117], v[118:119], v[132:133]
	v_add_f64 v[118:119], v[116:117], -v[118:119]
	s_delay_alu instid0(VALU_DEP_1)
	v_add_f64 v[118:119], v[132:133], -v[118:119]
	s_and_not1_saveexec_b32 s33, s33
	s_cbranch_execz .LBB1_121
	s_branch .LBB1_120
.LBB1_119:                              ;   in Loop: Header=BB1_93 Depth=3
	s_and_not1_saveexec_b32 s33, s33
	s_cbranch_execz .LBB1_121
.LBB1_120:                              ;   in Loop: Header=BB1_93 Depth=3
	v_mul_f64 v[116:117], |v[114:115]|, s[102:103]
	s_mov_b32 s98, s10
	s_delay_alu instid0(VALU_DEP_1) | instskip(NEXT) | instid1(VALU_DEP_1)
	v_rndne_f64_e32 v[132:133], v[116:117]
	v_fma_f64 v[116:117], v[132:133], s[96:97], |v[114:115]|
	v_mul_f64 v[118:119], v[132:133], s[10:11]
	v_cvt_i32_f64_e32 v160, v[132:133]
	s_delay_alu instid0(VALU_DEP_3) | instskip(NEXT) | instid1(VALU_DEP_3)
	v_fma_f64 v[145:146], v[132:133], s[10:11], v[116:117]
	v_add_f64 v[134:135], v[116:117], v[118:119]
	s_delay_alu instid0(VALU_DEP_1) | instskip(NEXT) | instid1(VALU_DEP_3)
	v_add_f64 v[116:117], v[116:117], -v[134:135]
	v_add_f64 v[134:135], v[134:135], -v[145:146]
	s_delay_alu instid0(VALU_DEP_2) | instskip(SKIP_1) | instid1(VALU_DEP_2)
	v_add_f64 v[116:117], v[116:117], v[118:119]
	v_fma_f64 v[118:119], v[132:133], s[98:99], v[118:119]
	v_add_f64 v[116:117], v[134:135], v[116:117]
	s_delay_alu instid0(VALU_DEP_1) | instskip(NEXT) | instid1(VALU_DEP_1)
	v_add_f64 v[116:117], v[116:117], -v[118:119]
	v_fma_f64 v[118:119], v[132:133], s[6:7], v[116:117]
	s_delay_alu instid0(VALU_DEP_1) | instskip(NEXT) | instid1(VALU_DEP_1)
	v_add_f64 v[116:117], v[145:146], v[118:119]
	v_add_f64 v[134:135], v[116:117], -v[145:146]
	s_delay_alu instid0(VALU_DEP_1)
	v_add_f64 v[118:119], v[118:119], -v[134:135]
.LBB1_121:                              ;   in Loop: Header=BB1_93 Depth=3
	s_or_b32 exec_lo, exec_lo, s33
                                        ; implicit-def: $vgpr27
                                        ; implicit-def: $vgpr132_vgpr133
                                        ; implicit-def: $vgpr134_vgpr135
	s_and_saveexec_b32 s33, s1
	s_delay_alu instid0(SALU_CYCLE_1)
	s_xor_b32 s1, exec_lo, s33
	s_cbranch_execz .LBB1_123
; %bb.122:                              ;   in Loop: Header=BB1_93 Depth=3
	v_cmp_le_f64_e64 vcc_lo, 0x7b000000, |v[114:115]|
	s_mov_b32 s94, s96
	s_mov_b32 s101, s99
	s_delay_alu instid0(VALU_DEP_4) | instskip(NEXT) | instid1(VALU_DEP_1)
	v_dual_cndmask_b32 v133, v96, v143 :: v_dual_cndmask_b32 v132, v114, v142
	v_mul_f64 v[134:135], v[140:141], v[132:133]
	v_mul_f64 v[142:143], v[136:137], v[132:133]
	v_mul_f64 v[145:146], v[138:139], v[132:133]
	s_delay_alu instid0(VALU_DEP_3) | instskip(NEXT) | instid1(VALU_DEP_3)
	v_fma_f64 v[140:141], v[140:141], v[132:133], -v[134:135]
	v_fma_f64 v[136:137], v[136:137], v[132:133], -v[142:143]
	s_delay_alu instid0(VALU_DEP_3) | instskip(NEXT) | instid1(VALU_DEP_3)
	v_fma_f64 v[132:133], v[138:139], v[132:133], -v[145:146]
	v_add_f64 v[147:148], v[142:143], v[140:141]
	s_delay_alu instid0(VALU_DEP_1) | instskip(NEXT) | instid1(VALU_DEP_1)
	v_add_f64 v[138:139], v[147:148], -v[142:143]
	v_add_f64 v[140:141], v[140:141], -v[138:139]
	;; [unrolled: 1-line block ×3, first 2 shown]
	s_delay_alu instid0(VALU_DEP_1) | instskip(SKIP_1) | instid1(VALU_DEP_2)
	v_add_f64 v[138:139], v[142:143], -v[138:139]
	v_add_f64 v[142:143], v[134:135], v[147:148]
	v_add_f64 v[138:139], v[140:141], v[138:139]
	s_delay_alu instid0(VALU_DEP_2) | instskip(SKIP_1) | instid1(VALU_DEP_2)
	v_add_f64 v[134:135], v[142:143], -v[134:135]
	v_ldexp_f64 v[142:143], v[142:143], -2
	v_add_f64 v[134:135], v[147:148], -v[134:135]
	v_add_f64 v[147:148], v[145:146], v[136:137]
	s_delay_alu instid0(VALU_DEP_3) | instskip(SKIP_1) | instid1(VALU_DEP_3)
	v_fract_f64_e32 v[140:141], v[142:143]
	v_cmp_neq_f64_e64 vcc_lo, 0x7ff00000, |v[142:143]|
	v_add_f64 v[142:143], v[147:148], -v[145:146]
	s_delay_alu instid0(VALU_DEP_3) | instskip(NEXT) | instid1(VALU_DEP_1)
	v_dual_cndmask_b32 v141, 0, v141 :: v_dual_cndmask_b32 v140, 0, v140
	v_ldexp_f64 v[140:141], v[140:141], 2
	s_delay_alu instid0(VALU_DEP_3) | instskip(SKIP_1) | instid1(VALU_DEP_1)
	v_add_f64 v[136:137], v[136:137], -v[142:143]
	v_add_f64 v[142:143], v[147:148], -v[142:143]
	;; [unrolled: 1-line block ×3, first 2 shown]
	v_add_f64 v[145:146], v[147:148], v[138:139]
	s_delay_alu instid0(VALU_DEP_2) | instskip(NEXT) | instid1(VALU_DEP_2)
	v_add_f64 v[136:137], v[136:137], v[142:143]
	v_add_f64 v[142:143], v[145:146], -v[147:148]
	s_delay_alu instid0(VALU_DEP_1) | instskip(SKIP_1) | instid1(VALU_DEP_1)
	v_add_f64 v[138:139], v[138:139], -v[142:143]
	v_add_f64 v[142:143], v[145:146], -v[142:143]
	v_add_f64 v[142:143], v[147:148], -v[142:143]
	v_add_f64 v[147:148], v[134:135], v[145:146]
	s_delay_alu instid0(VALU_DEP_2) | instskip(NEXT) | instid1(VALU_DEP_2)
	v_add_f64 v[138:139], v[138:139], v[142:143]
	v_add_f64 v[149:150], v[147:148], v[140:141]
	v_add_f64 v[134:135], v[147:148], -v[134:135]
	s_delay_alu instid0(VALU_DEP_3) | instskip(NEXT) | instid1(VALU_DEP_3)
	v_add_f64 v[136:137], v[136:137], v[138:139]
	v_cmp_gt_f64_e32 vcc_lo, 0, v[149:150]
	s_delay_alu instid0(VALU_DEP_3) | instskip(NEXT) | instid1(VALU_DEP_3)
	v_add_f64 v[134:135], v[145:146], -v[134:135]
	v_add_f64 v[132:133], v[132:133], v[136:137]
	v_cndmask_b32_e64 v27, 0, 0x40100000, vcc_lo
	s_delay_alu instid0(VALU_DEP_1) | instskip(NEXT) | instid1(VALU_DEP_3)
	v_add_f64 v[140:141], v[140:141], v[26:27]
	v_add_f64 v[132:133], v[134:135], v[132:133]
	s_delay_alu instid0(VALU_DEP_2) | instskip(NEXT) | instid1(VALU_DEP_1)
	v_add_f64 v[142:143], v[147:148], v[140:141]
	v_cvt_i32_f64_e32 v96, v[142:143]
	s_delay_alu instid0(VALU_DEP_1) | instskip(NEXT) | instid1(VALU_DEP_1)
	v_cvt_f64_i32_e32 v[142:143], v96
	v_add_f64 v[140:141], v[140:141], -v[142:143]
	s_delay_alu instid0(VALU_DEP_1) | instskip(NEXT) | instid1(VALU_DEP_1)
	v_add_f64 v[138:139], v[147:148], v[140:141]
	v_add_f64 v[136:137], v[138:139], -v[140:141]
	v_cmp_le_f64_e32 vcc_lo, 0.5, v[138:139]
	s_delay_alu instid0(VALU_DEP_2) | instskip(SKIP_1) | instid1(VALU_DEP_1)
	v_add_f64 v[134:135], v[147:148], -v[136:137]
	v_cndmask_b32_e64 v27, 0, 0x3ff00000, vcc_lo
	v_add_f64 v[136:137], v[138:139], -v[26:27]
	v_add_co_ci_u32_e32 v27, vcc_lo, 0, v96, vcc_lo
	s_delay_alu instid0(VALU_DEP_4) | instskip(NEXT) | instid1(VALU_DEP_1)
	v_add_f64 v[132:133], v[132:133], v[134:135]
	v_add_f64 v[134:135], v[136:137], v[132:133]
	s_delay_alu instid0(VALU_DEP_1) | instskip(SKIP_1) | instid1(VALU_DEP_2)
	v_mul_f64 v[138:139], v[134:135], s[94:95]
	v_add_f64 v[136:137], v[134:135], -v[136:137]
	v_fma_f64 v[140:141], v[134:135], s[94:95], -v[138:139]
	s_delay_alu instid0(VALU_DEP_2) | instskip(NEXT) | instid1(VALU_DEP_2)
	v_add_f64 v[132:133], v[132:133], -v[136:137]
	v_fma_f64 v[134:135], v[134:135], s[100:101], v[140:141]
	s_delay_alu instid0(VALU_DEP_1) | instskip(NEXT) | instid1(VALU_DEP_1)
	v_fma_f64 v[134:135], v[132:133], s[94:95], v[134:135]
	v_add_f64 v[132:133], v[138:139], v[134:135]
	s_delay_alu instid0(VALU_DEP_1) | instskip(NEXT) | instid1(VALU_DEP_1)
	v_add_f64 v[136:137], v[132:133], -v[138:139]
	v_add_f64 v[134:135], v[134:135], -v[136:137]
	s_and_not1_saveexec_b32 s1, s1
	s_cbranch_execnz .LBB1_124
	s_branch .LBB1_125
.LBB1_123:                              ;   in Loop: Header=BB1_93 Depth=3
	s_and_not1_saveexec_b32 s1, s1
	s_cbranch_execz .LBB1_125
.LBB1_124:                              ;   in Loop: Header=BB1_93 Depth=3
	v_mul_f64 v[132:133], |v[114:115]|, s[102:103]
	s_mov_b32 s98, s10
	s_delay_alu instid0(VALU_DEP_1) | instskip(NEXT) | instid1(VALU_DEP_1)
	v_rndne_f64_e32 v[136:137], v[132:133]
	v_fma_f64 v[132:133], v[136:137], s[96:97], |v[114:115]|
	v_mul_f64 v[134:135], v[136:137], s[10:11]
	v_cvt_i32_f64_e32 v27, v[136:137]
	s_delay_alu instid0(VALU_DEP_3) | instskip(NEXT) | instid1(VALU_DEP_3)
	v_fma_f64 v[140:141], v[136:137], s[10:11], v[132:133]
	v_add_f64 v[138:139], v[132:133], v[134:135]
	s_delay_alu instid0(VALU_DEP_1) | instskip(NEXT) | instid1(VALU_DEP_3)
	v_add_f64 v[132:133], v[132:133], -v[138:139]
	v_add_f64 v[138:139], v[138:139], -v[140:141]
	s_delay_alu instid0(VALU_DEP_2) | instskip(SKIP_1) | instid1(VALU_DEP_2)
	v_add_f64 v[132:133], v[132:133], v[134:135]
	v_fma_f64 v[134:135], v[136:137], s[98:99], v[134:135]
	v_add_f64 v[132:133], v[138:139], v[132:133]
	s_delay_alu instid0(VALU_DEP_1) | instskip(NEXT) | instid1(VALU_DEP_1)
	v_add_f64 v[132:133], v[132:133], -v[134:135]
	v_fma_f64 v[134:135], v[136:137], s[6:7], v[132:133]
	s_delay_alu instid0(VALU_DEP_1) | instskip(NEXT) | instid1(VALU_DEP_1)
	v_add_f64 v[132:133], v[140:141], v[134:135]
	v_add_f64 v[138:139], v[132:133], -v[140:141]
	s_delay_alu instid0(VALU_DEP_1)
	v_add_f64 v[134:135], v[134:135], -v[138:139]
.LBB1_125:                              ;   in Loop: Header=BB1_93 Depth=3
	s_or_b32 exec_lo, exec_lo, s1
	v_mul_f64 v[136:137], v[122:123], v[122:123]
	v_mul_f64 v[145:146], v[124:125], 0.5
	v_mul_f64 v[128:129], v[128:129], v[98:99]
	s_mov_b32 s38, s60
	v_and_b32_e32 v96, 1, v144
	s_mov_b32 s44, s52
	s_mov_b32 s46, s50
	;; [unrolled: 1-line block ×4, first 2 shown]
                                        ; implicit-def: $vgpr161
	s_delay_alu instid0(VALU_DEP_4) | instskip(SKIP_1) | instid1(VALU_DEP_2)
	v_mul_f64 v[138:139], v[136:137], 0.5
	v_mul_f64 v[147:148], v[122:123], -v[136:137]
	v_add_f64 v[140:141], -v[138:139], 1.0
	s_delay_alu instid0(VALU_DEP_1) | instskip(NEXT) | instid1(VALU_DEP_1)
	v_add_f64 v[142:143], -v[140:141], 1.0
	v_add_f64 v[138:139], v[142:143], -v[138:139]
	v_fma_f64 v[142:143], v[136:137], s[28:29], s[26:27]
	s_delay_alu instid0(VALU_DEP_2) | instskip(NEXT) | instid1(VALU_DEP_2)
	v_fma_f64 v[138:139], v[122:123], -v[124:125], v[138:139]
	v_fma_f64 v[142:143], v[136:137], v[142:143], s[30:31]
	s_delay_alu instid0(VALU_DEP_1) | instskip(NEXT) | instid1(VALU_DEP_1)
	v_fma_f64 v[142:143], v[136:137], v[142:143], s[34:35]
	v_fma_f64 v[142:143], v[136:137], v[142:143], s[36:37]
	s_delay_alu instid0(VALU_DEP_1) | instskip(NEXT) | instid1(VALU_DEP_1)
	v_fma_f64 v[142:143], v[147:148], v[142:143], v[145:146]
	v_fma_f64 v[124:125], v[136:137], v[142:143], -v[124:125]
	v_fma_f64 v[142:143], v[136:137], s[16:17], s[14:15]
	s_delay_alu instid0(VALU_DEP_2) | instskip(NEXT) | instid1(VALU_DEP_2)
	v_fma_f64 v[124:125], v[147:148], s[38:39], v[124:125]
	v_fma_f64 v[142:143], v[136:137], v[142:143], s[18:19]
	s_delay_alu instid0(VALU_DEP_2) | instskip(NEXT) | instid1(VALU_DEP_2)
	v_add_f64 v[122:123], v[122:123], -v[124:125]
	v_fma_f64 v[142:143], v[136:137], v[142:143], s[20:21]
	s_delay_alu instid0(VALU_DEP_1) | instskip(NEXT) | instid1(VALU_DEP_1)
	v_fma_f64 v[142:143], v[136:137], v[142:143], s[22:23]
	v_fma_f64 v[142:143], v[136:137], v[142:143], s[60:61]
	v_mul_f64 v[136:137], v[136:137], v[136:137]
	s_delay_alu instid0(VALU_DEP_1) | instskip(SKIP_1) | instid1(VALU_DEP_2)
	v_fma_f64 v[136:137], v[136:137], v[142:143], v[138:139]
	v_mul_f64 v[138:139], v[132:133], v[132:133]
	v_add_f64 v[136:137], v[140:141], v[136:137]
	s_delay_alu instid0(VALU_DEP_2) | instskip(SKIP_2) | instid1(VALU_DEP_3)
	v_mul_f64 v[142:143], v[138:139], 0.5
	v_mul_f64 v[151:152], v[138:139], v[138:139]
	v_mul_f64 v[153:154], v[132:133], -v[138:139]
	v_add_f64 v[149:150], -v[142:143], 1.0
	s_delay_alu instid0(VALU_DEP_1) | instskip(NEXT) | instid1(VALU_DEP_1)
	v_add_f64 v[145:146], -v[149:150], 1.0
	v_add_f64 v[142:143], v[145:146], -v[142:143]
	v_fma_f64 v[145:146], v[138:139], s[16:17], s[14:15]
	s_delay_alu instid0(VALU_DEP_2) | instskip(NEXT) | instid1(VALU_DEP_2)
	v_fma_f64 v[142:143], v[132:133], -v[134:135], v[142:143]
	v_fma_f64 v[145:146], v[138:139], v[145:146], s[18:19]
	s_delay_alu instid0(VALU_DEP_1) | instskip(NEXT) | instid1(VALU_DEP_1)
	v_fma_f64 v[145:146], v[138:139], v[145:146], s[20:21]
	v_fma_f64 v[145:146], v[138:139], v[145:146], s[22:23]
	s_delay_alu instid0(VALU_DEP_1) | instskip(NEXT) | instid1(VALU_DEP_1)
	v_fma_f64 v[145:146], v[138:139], v[145:146], s[60:61]
	v_fma_f64 v[142:143], v[151:152], v[145:146], v[142:143]
	v_fma_f64 v[145:146], v[138:139], s[28:29], s[26:27]
	v_mul_f64 v[151:152], v[134:135], 0.5
	s_delay_alu instid0(VALU_DEP_2) | instskip(NEXT) | instid1(VALU_DEP_1)
	v_fma_f64 v[145:146], v[138:139], v[145:146], s[30:31]
	v_fma_f64 v[145:146], v[138:139], v[145:146], s[34:35]
	s_delay_alu instid0(VALU_DEP_1) | instskip(NEXT) | instid1(VALU_DEP_1)
	v_fma_f64 v[145:146], v[138:139], v[145:146], s[36:37]
	v_fma_f64 v[145:146], v[153:154], v[145:146], v[151:152]
	s_delay_alu instid0(VALU_DEP_1) | instskip(SKIP_1) | instid1(VALU_DEP_2)
	v_fma_f64 v[134:135], v[138:139], v[145:146], -v[134:135]
	v_div_scale_f64 v[138:139], null, v[128:129], v[128:129], 1.0
	v_fma_f64 v[134:135], v[153:154], s[38:39], v[134:135]
	s_delay_alu instid0(VALU_DEP_2) | instskip(NEXT) | instid1(VALU_DEP_1)
	v_rcp_f64_e32 v[145:146], v[138:139]
	v_add_f64 v[132:133], v[132:133], -v[134:135]
	v_add_f64 v[134:135], v[88:89], -1.0
	s_waitcnt_depctr 0xfff
	v_fma_f64 v[151:152], -v[138:139], v[145:146], 1.0
	s_delay_alu instid0(VALU_DEP_1) | instskip(NEXT) | instid1(VALU_DEP_1)
	v_fma_f64 v[145:146], v[145:146], v[151:152], v[145:146]
	v_fma_f64 v[151:152], -v[138:139], v[145:146], 1.0
	s_delay_alu instid0(VALU_DEP_1) | instskip(SKIP_1) | instid1(VALU_DEP_1)
	v_fma_f64 v[145:146], v[145:146], v[151:152], v[145:146]
	v_div_scale_f64 v[151:152], vcc_lo, 1.0, v[128:129], 1.0
	v_mul_f64 v[155:156], v[151:152], v[145:146]
	s_delay_alu instid0(VALU_DEP_1) | instskip(NEXT) | instid1(VALU_DEP_1)
	v_fma_f64 v[138:139], -v[138:139], v[155:156], v[151:152]
	v_div_fmas_f64 v[138:139], v[138:139], v[145:146], v[155:156]
	v_cmp_eq_u32_e32 vcc_lo, 0, v96
	v_cndmask_b32_e32 v96, v136, v122, vcc_lo
	v_dual_cndmask_b32 v122, v137, v123 :: v_dual_lshlrev_b32 v123, 30, v144
	s_delay_alu instid0(VALU_DEP_2) | instskip(NEXT) | instid1(VALU_DEP_2)
	v_cndmask_b32_e64 v96, 0, v96, s0
	v_xor_b32_e32 v97, v123, v97
	s_delay_alu instid0(VALU_DEP_1) | instskip(NEXT) | instid1(VALU_DEP_1)
	v_and_b32_e32 v97, 0x80000000, v97
	v_xor_b32_e32 v97, v122, v97
	s_delay_alu instid0(VALU_DEP_1) | instskip(SKIP_1) | instid1(VALU_DEP_2)
	v_cndmask_b32_e64 v97, 0x7ff80000, v97, s0
	v_cmp_class_f64_e64 s0, v[114:115], 0x1f8
	v_mul_f64 v[122:123], v[96:97], v[96:97]
	v_cmp_gt_f64_e64 s1, s[12:13], v[96:97]
	s_delay_alu instid0(VALU_DEP_1) | instskip(NEXT) | instid1(VALU_DEP_3)
	v_cndmask_b32_e64 v145, v123, 0x3c9cd2b2, s1
	v_cndmask_b32_e64 v144, v122, 0x97d889bc, s1
	;; [unrolled: 1-line block ×4, first 2 shown]
	s_delay_alu instid0(VALU_DEP_3) | instskip(NEXT) | instid1(VALU_DEP_1)
	v_mul_f64 v[122:123], v[144:145], v[144:145]
	v_div_scale_f64 v[124:125], null, v[122:123], v[122:123], v[20:21]
	s_delay_alu instid0(VALU_DEP_1) | instskip(SKIP_2) | instid1(VALU_DEP_1)
	v_rcp_f64_e32 v[136:137], v[124:125]
	s_waitcnt_depctr 0xfff
	v_fma_f64 v[140:141], -v[124:125], v[136:137], 1.0
	v_fma_f64 v[136:137], v[136:137], v[140:141], v[136:137]
	s_delay_alu instid0(VALU_DEP_1) | instskip(NEXT) | instid1(VALU_DEP_1)
	v_fma_f64 v[140:141], -v[124:125], v[136:137], 1.0
	v_fma_f64 v[136:137], v[136:137], v[140:141], v[136:137]
	v_div_scale_f64 v[140:141], vcc_lo, v[20:21], v[122:123], v[20:21]
	s_delay_alu instid0(VALU_DEP_1) | instskip(NEXT) | instid1(VALU_DEP_1)
	v_mul_f64 v[146:147], v[140:141], v[136:137]
	v_fma_f64 v[124:125], -v[124:125], v[146:147], v[140:141]
	s_delay_alu instid0(VALU_DEP_1) | instskip(SKIP_1) | instid1(VALU_DEP_2)
	v_div_fmas_f64 v[124:125], v[124:125], v[136:137], v[146:147]
	v_add_f64 v[136:137], v[126:127], v[126:127]
	v_div_fixup_f64 v[122:123], v[124:125], v[122:123], v[20:21]
	s_delay_alu instid0(VALU_DEP_2)
	v_mul_f64 v[126:127], v[126:127], v[136:137]
	v_add_f64 v[136:137], v[149:150], v[142:143]
	v_add_f64 v[150:151], v[88:89], v[88:89]
	;; [unrolled: 1-line block ×3, first 2 shown]
	v_div_fixup_f64 v[148:149], v[138:139], v[128:129], 1.0
	v_fma_f64 v[92:93], v[78:79], s[44:45], v[14:15]
	v_fma_f64 v[124:125], v[50:51], s[58:59], v[4:5]
	v_mul_f64 v[126:127], v[134:135], v[126:127]
	v_mul_f64 v[152:153], v[150:151], v[88:89]
	s_delay_alu instid0(VALU_DEP_4) | instskip(NEXT) | instid1(VALU_DEP_4)
	v_fma_f64 v[92:93], v[112:113], s[46:47], v[92:93]
	v_fma_f64 v[124:125], 0x3fd5e000, v[90:91], v[124:125]
	v_mul_f64 v[90:91], -v[96:97], v[130:131]
	v_add_f64 v[96:97], v[122:123], -v[6:7]
	v_mul_f64 v[94:95], v[126:127], v[94:95]
	v_and_b32_e32 v126, 1, v27
	v_lshlrev_b32_e32 v27, 30, v27
	v_fma_f64 v[88:89], -v[22:23], v[134:135], v[152:153]
	s_delay_alu instid0(VALU_DEP_3) | instskip(SKIP_1) | instid1(VALU_DEP_4)
	v_cmp_eq_u32_e32 vcc_lo, 0, v126
	v_xor_b32_e32 v126, 0x80000000, v133
	v_and_b32_e32 v27, 0x80000000, v27
	v_mul_f64 v[90:91], v[96:97], v[90:91]
	v_fma_f64 v[96:97], v[74:75], s[54:55], v[16:17]
	s_delay_alu instid0(VALU_DEP_4) | instskip(NEXT) | instid1(VALU_DEP_1)
	v_dual_cndmask_b32 v127, v132, v136 :: v_dual_cndmask_b32 v126, v126, v137
	v_xor_b32_e32 v27, v126, v27
	s_delay_alu instid0(VALU_DEP_2) | instskip(NEXT) | instid1(VALU_DEP_2)
	v_cndmask_b32_e64 v126, 0, v127, s0
	v_cndmask_b32_e64 v127, 0x7ff80000, v27, s0
	v_add_f64 v[88:89], v[88:89], -v[28:29]
	v_mul_f64 v[90:91], v[90:91], v[120:121]
	v_fma_f64 v[96:97], 0x40040000, v[110:111], v[96:97]
	s_delay_alu instid0(VALU_DEP_3) | instskip(SKIP_1) | instid1(VALU_DEP_4)
	v_fma_f64 v[88:89], v[88:89], v[148:149], -v[94:95]
	v_fma_f64 v[94:95], v[102:103], -2.0, v[104:105]
	v_mul_f64 v[90:91], v[52:53], v[90:91]
	s_delay_alu instid0(VALU_DEP_4) | instskip(NEXT) | instid1(VALU_DEP_4)
	v_fma_f64 v[96:97], v[82:83], s[56:57], v[96:97]
	v_mul_f64 v[88:89], v[52:53], -v[88:89]
	s_delay_alu instid0(VALU_DEP_4) | instskip(NEXT) | instid1(VALU_DEP_3)
	v_add_f64 v[154:155], v[6:7], v[94:95]
	v_fma_f64 v[96:97], v[90:91], s[66:67], v[96:97]
	s_delay_alu instid0(VALU_DEP_3) | instskip(SKIP_1) | instid1(VALU_DEP_2)
	v_fma_f64 v[146:147], v[88:89], s[48:49], v[92:93]
	v_fma_f64 v[92:93], v[76:77], s[54:55], v[2:3]
	v_mul_f64 v[94:95], v[154:155], -v[146:147]
	s_delay_alu instid0(VALU_DEP_2) | instskip(NEXT) | instid1(VALU_DEP_2)
	v_fma_f64 v[92:93], 0x40040000, v[108:109], v[92:93]
	v_mul_f64 v[94:95], v[94:95], v[120:121]
	s_delay_alu instid0(VALU_DEP_2) | instskip(NEXT) | instid1(VALU_DEP_2)
	v_fma_f64 v[128:129], v[86:87], s[56:57], v[92:93]
	v_mul_f64 v[92:93], v[52:53], v[94:95]
	v_mul_f64 v[94:95], v[126:127], v[126:127]
	s_delay_alu instid0(VALU_DEP_2) | instskip(NEXT) | instid1(VALU_DEP_1)
	v_fma_f64 v[128:129], v[92:93], s[66:67], v[128:129]
	v_mul_f64 v[136:137], v[128:129], v[128:129]
	s_delay_alu instid0(VALU_DEP_1) | instskip(NEXT) | instid1(VALU_DEP_1)
	v_fma_f64 v[138:139], v[6:7], v[94:95], v[136:137]
	v_div_scale_f64 v[94:95], null, v[138:139], v[138:139], 1.0
	s_delay_alu instid0(VALU_DEP_1) | instskip(SKIP_2) | instid1(VALU_DEP_1)
	v_rcp_f64_e32 v[132:133], v[94:95]
	s_waitcnt_depctr 0xfff
	v_fma_f64 v[134:135], -v[94:95], v[132:133], 1.0
	v_fma_f64 v[132:133], v[132:133], v[134:135], v[132:133]
	s_delay_alu instid0(VALU_DEP_1) | instskip(NEXT) | instid1(VALU_DEP_1)
	v_fma_f64 v[134:135], -v[94:95], v[132:133], 1.0
	v_fma_f64 v[132:133], v[132:133], v[134:135], v[132:133]
	v_div_scale_f64 v[134:135], vcc_lo, 1.0, v[138:139], 1.0
	s_delay_alu instid0(VALU_DEP_1) | instskip(NEXT) | instid1(VALU_DEP_1)
	v_mul_f64 v[140:141], v[134:135], v[132:133]
	v_fma_f64 v[94:95], -v[94:95], v[140:141], v[134:135]
                                        ; implicit-def: $vgpr134_vgpr135
	s_delay_alu instid0(VALU_DEP_1) | instskip(NEXT) | instid1(VALU_DEP_1)
	v_div_fmas_f64 v[94:95], v[94:95], v[132:133], v[140:141]
                                        ; implicit-def: $vgpr132_vgpr133
	v_div_fixup_f64 v[140:141], v[94:95], v[138:139], 1.0
	v_fma_f64 v[94:95], v[80:81], s[74:75], v[124:125]
	s_delay_alu instid0(VALU_DEP_2) | instskip(NEXT) | instid1(VALU_DEP_2)
	v_mul_f64 v[96:97], v[140:141], -v[96:97]
	v_fma_f64 v[94:95], v[84:85], s[76:77], v[94:95]
	s_delay_alu instid0(VALU_DEP_2) | instskip(NEXT) | instid1(VALU_DEP_1)
	v_mul_f64 v[142:143], v[52:53], v[96:97]
	v_fma_f64 v[122:123], 0x3fafa000, v[142:143], v[94:95]
	s_delay_alu instid0(VALU_DEP_1)
	v_cmp_ngt_f64_e64 s33, 0x41d00000, |v[122:123]|
	v_trig_preop_f64 v[156:157], |v[122:123]|, 0
	v_trig_preop_f64 v[94:95], |v[122:123]|, 1
	v_ldexp_f64 v[158:159], |v[122:123]|, 0xffffff80
	v_trig_preop_f64 v[96:97], |v[122:123]|, 2
	v_and_b32_e32 v114, 0x7fffffff, v123
	s_and_saveexec_b32 s1, s33
	s_delay_alu instid0(SALU_CYCLE_1)
	s_xor_b32 s38, exec_lo, s1
	s_cbranch_execz .LBB1_127
; %bb.126:                              ;   in Loop: Header=BB1_93 Depth=3
	v_cmp_le_f64_e64 vcc_lo, 0x7b000000, |v[122:123]|
	s_mov_b32 s94, s96
	s_mov_b32 s101, s99
	s_delay_alu instid0(VALU_DEP_4) | instskip(SKIP_1) | instid1(VALU_DEP_1)
	v_cndmask_b32_e32 v125, v114, v159, vcc_lo
	v_cndmask_b32_e32 v124, v122, v158, vcc_lo
	v_mul_f64 v[130:131], v[156:157], v[124:125]
	v_mul_f64 v[132:133], v[94:95], v[124:125]
	s_delay_alu instid0(VALU_DEP_2) | instskip(NEXT) | instid1(VALU_DEP_1)
	v_fma_f64 v[134:135], v[156:157], v[124:125], -v[130:131]
	v_add_f64 v[161:162], v[132:133], v[134:135]
	s_delay_alu instid0(VALU_DEP_1) | instskip(NEXT) | instid1(VALU_DEP_1)
	v_add_f64 v[163:164], v[161:162], -v[132:133]
	v_add_f64 v[134:135], v[134:135], -v[163:164]
	;; [unrolled: 1-line block ×3, first 2 shown]
	s_delay_alu instid0(VALU_DEP_1) | instskip(SKIP_1) | instid1(VALU_DEP_2)
	v_add_f64 v[163:164], v[132:133], -v[163:164]
	v_fma_f64 v[132:133], v[94:95], v[124:125], -v[132:133]
	v_add_f64 v[134:135], v[134:135], v[163:164]
	v_mul_f64 v[163:164], v[96:97], v[124:125]
	s_delay_alu instid0(VALU_DEP_1) | instskip(NEXT) | instid1(VALU_DEP_1)
	v_add_f64 v[165:166], v[163:164], v[132:133]
	v_add_f64 v[167:168], v[165:166], -v[163:164]
	s_delay_alu instid0(VALU_DEP_1) | instskip(SKIP_1) | instid1(VALU_DEP_1)
	v_add_f64 v[132:133], v[132:133], -v[167:168]
	v_add_f64 v[167:168], v[165:166], -v[167:168]
	v_add_f64 v[167:168], v[163:164], -v[167:168]
	s_delay_alu instid0(VALU_DEP_1) | instskip(SKIP_1) | instid1(VALU_DEP_1)
	v_add_f64 v[132:133], v[132:133], v[167:168]
	v_add_f64 v[167:168], v[165:166], v[134:135]
	v_add_f64 v[169:170], v[167:168], -v[165:166]
	s_delay_alu instid0(VALU_DEP_1) | instskip(SKIP_1) | instid1(VALU_DEP_1)
	v_add_f64 v[134:135], v[134:135], -v[169:170]
	v_add_f64 v[169:170], v[167:168], -v[169:170]
	;; [unrolled: 1-line block ×3, first 2 shown]
	v_add_f64 v[169:170], v[130:131], v[161:162]
	s_delay_alu instid0(VALU_DEP_2) | instskip(NEXT) | instid1(VALU_DEP_2)
	v_add_f64 v[134:135], v[134:135], v[165:166]
	v_add_f64 v[130:131], v[169:170], -v[130:131]
	v_ldexp_f64 v[169:170], v[169:170], -2
	s_delay_alu instid0(VALU_DEP_3) | instskip(NEXT) | instid1(VALU_DEP_3)
	v_add_f64 v[132:133], v[132:133], v[134:135]
	v_add_f64 v[130:131], v[161:162], -v[130:131]
	s_delay_alu instid0(VALU_DEP_3) | instskip(SKIP_1) | instid1(VALU_DEP_3)
	v_fract_f64_e32 v[171:172], v[169:170]
	v_cmp_neq_f64_e64 vcc_lo, 0x7ff00000, |v[169:170]|
	v_add_f64 v[134:135], v[130:131], v[167:168]
	s_delay_alu instid0(VALU_DEP_3) | instskip(SKIP_1) | instid1(VALU_DEP_3)
	v_dual_cndmask_b32 v161, 0, v171 :: v_dual_cndmask_b32 v162, 0, v172
	v_fma_f64 v[124:125], v[96:97], v[124:125], -v[163:164]
	v_add_f64 v[130:131], v[134:135], -v[130:131]
	s_delay_alu instid0(VALU_DEP_2) | instskip(NEXT) | instid1(VALU_DEP_4)
	v_add_f64 v[124:125], v[124:125], v[132:133]
	v_ldexp_f64 v[132:133], v[161:162], 2
	s_delay_alu instid0(VALU_DEP_3) | instskip(NEXT) | instid1(VALU_DEP_2)
	v_add_f64 v[130:131], v[167:168], -v[130:131]
	v_add_f64 v[161:162], v[134:135], v[132:133]
	s_delay_alu instid0(VALU_DEP_2) | instskip(NEXT) | instid1(VALU_DEP_2)
	v_add_f64 v[124:125], v[130:131], v[124:125]
	v_cmp_gt_f64_e32 vcc_lo, 0, v[161:162]
	v_cndmask_b32_e64 v27, 0, 0x40100000, vcc_lo
	s_delay_alu instid0(VALU_DEP_1) | instskip(NEXT) | instid1(VALU_DEP_1)
	v_add_f64 v[132:133], v[132:133], v[26:27]
	v_add_f64 v[161:162], v[134:135], v[132:133]
	s_delay_alu instid0(VALU_DEP_1) | instskip(NEXT) | instid1(VALU_DEP_1)
	v_cvt_i32_f64_e32 v27, v[161:162]
	v_cvt_f64_i32_e32 v[161:162], v27
	s_delay_alu instid0(VALU_DEP_1) | instskip(NEXT) | instid1(VALU_DEP_1)
	v_add_f64 v[132:133], v[132:133], -v[161:162]
	v_add_f64 v[130:131], v[134:135], v[132:133]
	s_delay_alu instid0(VALU_DEP_1) | instskip(SKIP_1) | instid1(VALU_DEP_2)
	v_add_f64 v[132:133], v[130:131], -v[132:133]
	v_cmp_le_f64_e32 vcc_lo, 0.5, v[130:131]
	v_add_f64 v[132:133], v[134:135], -v[132:133]
	v_add_co_ci_u32_e64 v161, s1, 0, v27, vcc_lo
	v_cndmask_b32_e64 v27, 0, 0x3ff00000, vcc_lo
	s_delay_alu instid0(VALU_DEP_1) | instskip(NEXT) | instid1(VALU_DEP_4)
	v_add_f64 v[130:131], v[130:131], -v[26:27]
	v_add_f64 v[124:125], v[124:125], v[132:133]
	s_delay_alu instid0(VALU_DEP_1) | instskip(NEXT) | instid1(VALU_DEP_1)
	v_add_f64 v[132:133], v[130:131], v[124:125]
	v_add_f64 v[130:131], v[132:133], -v[130:131]
	s_delay_alu instid0(VALU_DEP_1) | instskip(SKIP_1) | instid1(VALU_DEP_1)
	v_add_f64 v[124:125], v[124:125], -v[130:131]
	v_mul_f64 v[130:131], v[132:133], s[94:95]
	v_fma_f64 v[134:135], v[132:133], s[94:95], -v[130:131]
	s_delay_alu instid0(VALU_DEP_1) | instskip(NEXT) | instid1(VALU_DEP_1)
	v_fma_f64 v[132:133], v[132:133], s[100:101], v[134:135]
	v_fma_f64 v[124:125], v[124:125], s[94:95], v[132:133]
	s_delay_alu instid0(VALU_DEP_1) | instskip(NEXT) | instid1(VALU_DEP_1)
	v_add_f64 v[132:133], v[130:131], v[124:125]
	v_add_f64 v[130:131], v[132:133], -v[130:131]
	s_delay_alu instid0(VALU_DEP_1)
	v_add_f64 v[134:135], v[124:125], -v[130:131]
	s_and_not1_saveexec_b32 s1, s38
	s_cbranch_execz .LBB1_129
	s_branch .LBB1_128
.LBB1_127:                              ;   in Loop: Header=BB1_93 Depth=3
	s_and_not1_saveexec_b32 s1, s38
	s_cbranch_execz .LBB1_129
.LBB1_128:                              ;   in Loop: Header=BB1_93 Depth=3
	v_mul_f64 v[124:125], |v[122:123]|, s[102:103]
	s_mov_b32 s98, s10
	s_delay_alu instid0(VALU_DEP_1) | instskip(NEXT) | instid1(VALU_DEP_1)
	v_rndne_f64_e32 v[124:125], v[124:125]
	v_fma_f64 v[130:131], v[124:125], s[96:97], |v[122:123]|
	v_mul_f64 v[132:133], v[124:125], s[10:11]
	s_delay_alu instid0(VALU_DEP_2) | instskip(NEXT) | instid1(VALU_DEP_2)
	v_fma_f64 v[161:162], v[124:125], s[10:11], v[130:131]
	v_add_f64 v[134:135], v[130:131], v[132:133]
	s_delay_alu instid0(VALU_DEP_1) | instskip(NEXT) | instid1(VALU_DEP_3)
	v_add_f64 v[130:131], v[130:131], -v[134:135]
	v_add_f64 v[134:135], v[134:135], -v[161:162]
	s_delay_alu instid0(VALU_DEP_2) | instskip(SKIP_1) | instid1(VALU_DEP_2)
	v_add_f64 v[130:131], v[130:131], v[132:133]
	v_fma_f64 v[132:133], v[124:125], s[98:99], v[132:133]
	v_add_f64 v[130:131], v[134:135], v[130:131]
	s_delay_alu instid0(VALU_DEP_1) | instskip(NEXT) | instid1(VALU_DEP_1)
	v_add_f64 v[130:131], v[130:131], -v[132:133]
	v_fma_f64 v[130:131], v[124:125], s[6:7], v[130:131]
	s_delay_alu instid0(VALU_DEP_1) | instskip(NEXT) | instid1(VALU_DEP_1)
	v_add_f64 v[132:133], v[161:162], v[130:131]
	v_add_f64 v[134:135], v[132:133], -v[161:162]
	v_cvt_i32_f64_e32 v161, v[124:125]
	s_delay_alu instid0(VALU_DEP_2)
	v_add_f64 v[134:135], v[130:131], -v[134:135]
.LBB1_129:                              ;   in Loop: Header=BB1_93 Depth=3
	s_or_b32 exec_lo, exec_lo, s1
                                        ; implicit-def: $vgpr27
                                        ; implicit-def: $vgpr124_vgpr125
                                        ; implicit-def: $vgpr130_vgpr131
	s_and_saveexec_b32 s1, s33
	s_delay_alu instid0(SALU_CYCLE_1)
	s_xor_b32 s1, exec_lo, s1
	s_cbranch_execz .LBB1_131
; %bb.130:                              ;   in Loop: Header=BB1_93 Depth=3
	v_cmp_le_f64_e64 vcc_lo, 0x7b000000, |v[122:123]|
	s_mov_b32 s94, s96
	s_mov_b32 s101, s99
	s_delay_alu instid0(VALU_DEP_4) | instskip(SKIP_1) | instid1(VALU_DEP_1)
	v_cndmask_b32_e32 v125, v114, v159, vcc_lo
	v_cndmask_b32_e32 v124, v122, v158, vcc_lo
	v_mul_f64 v[130:131], v[156:157], v[124:125]
	v_mul_f64 v[158:159], v[94:95], v[124:125]
	;; [unrolled: 1-line block ×3, first 2 shown]
	s_delay_alu instid0(VALU_DEP_3) | instskip(NEXT) | instid1(VALU_DEP_3)
	v_fma_f64 v[156:157], v[156:157], v[124:125], -v[130:131]
	v_fma_f64 v[94:95], v[94:95], v[124:125], -v[158:159]
	s_delay_alu instid0(VALU_DEP_3) | instskip(NEXT) | instid1(VALU_DEP_3)
	v_fma_f64 v[96:97], v[96:97], v[124:125], -v[162:163]
	v_add_f64 v[164:165], v[158:159], v[156:157]
	s_delay_alu instid0(VALU_DEP_1) | instskip(NEXT) | instid1(VALU_DEP_1)
	v_add_f64 v[124:125], v[164:165], -v[158:159]
	v_add_f64 v[156:157], v[156:157], -v[124:125]
	v_add_f64 v[124:125], v[164:165], -v[124:125]
	s_delay_alu instid0(VALU_DEP_1) | instskip(SKIP_1) | instid1(VALU_DEP_2)
	v_add_f64 v[124:125], v[158:159], -v[124:125]
	v_add_f64 v[158:159], v[130:131], v[164:165]
	v_add_f64 v[124:125], v[156:157], v[124:125]
	s_delay_alu instid0(VALU_DEP_2) | instskip(SKIP_1) | instid1(VALU_DEP_2)
	v_add_f64 v[130:131], v[158:159], -v[130:131]
	v_ldexp_f64 v[158:159], v[158:159], -2
	v_add_f64 v[130:131], v[164:165], -v[130:131]
	v_add_f64 v[164:165], v[162:163], v[94:95]
	s_delay_alu instid0(VALU_DEP_3) | instskip(SKIP_1) | instid1(VALU_DEP_3)
	v_fract_f64_e32 v[156:157], v[158:159]
	v_cmp_neq_f64_e64 vcc_lo, 0x7ff00000, |v[158:159]|
	v_add_f64 v[158:159], v[164:165], -v[162:163]
	s_delay_alu instid0(VALU_DEP_3) | instskip(NEXT) | instid1(VALU_DEP_1)
	v_dual_cndmask_b32 v157, 0, v157 :: v_dual_cndmask_b32 v156, 0, v156
	v_ldexp_f64 v[156:157], v[156:157], 2
	s_delay_alu instid0(VALU_DEP_3) | instskip(SKIP_1) | instid1(VALU_DEP_1)
	v_add_f64 v[94:95], v[94:95], -v[158:159]
	v_add_f64 v[158:159], v[164:165], -v[158:159]
	v_add_f64 v[158:159], v[162:163], -v[158:159]
	v_add_f64 v[162:163], v[164:165], v[124:125]
	s_delay_alu instid0(VALU_DEP_2) | instskip(NEXT) | instid1(VALU_DEP_2)
	v_add_f64 v[94:95], v[94:95], v[158:159]
	v_add_f64 v[158:159], v[162:163], -v[164:165]
	s_delay_alu instid0(VALU_DEP_1) | instskip(SKIP_1) | instid1(VALU_DEP_1)
	v_add_f64 v[124:125], v[124:125], -v[158:159]
	v_add_f64 v[158:159], v[162:163], -v[158:159]
	;; [unrolled: 1-line block ×3, first 2 shown]
	v_add_f64 v[164:165], v[130:131], v[162:163]
	s_delay_alu instid0(VALU_DEP_2) | instskip(NEXT) | instid1(VALU_DEP_2)
	v_add_f64 v[124:125], v[124:125], v[158:159]
	v_add_f64 v[166:167], v[164:165], v[156:157]
	v_add_f64 v[130:131], v[164:165], -v[130:131]
	s_delay_alu instid0(VALU_DEP_3) | instskip(NEXT) | instid1(VALU_DEP_3)
	v_add_f64 v[94:95], v[94:95], v[124:125]
	v_cmp_gt_f64_e32 vcc_lo, 0, v[166:167]
	s_delay_alu instid0(VALU_DEP_3) | instskip(NEXT) | instid1(VALU_DEP_3)
	v_add_f64 v[130:131], v[162:163], -v[130:131]
	v_add_f64 v[94:95], v[96:97], v[94:95]
	v_cndmask_b32_e64 v27, 0, 0x40100000, vcc_lo
	s_delay_alu instid0(VALU_DEP_1) | instskip(NEXT) | instid1(VALU_DEP_3)
	v_add_f64 v[156:157], v[156:157], v[26:27]
	v_add_f64 v[94:95], v[130:131], v[94:95]
	s_delay_alu instid0(VALU_DEP_2) | instskip(NEXT) | instid1(VALU_DEP_1)
	v_add_f64 v[158:159], v[164:165], v[156:157]
	v_cvt_i32_f64_e32 v114, v[158:159]
	s_delay_alu instid0(VALU_DEP_1) | instskip(NEXT) | instid1(VALU_DEP_1)
	v_cvt_f64_i32_e32 v[158:159], v114
	v_add_f64 v[156:157], v[156:157], -v[158:159]
	s_delay_alu instid0(VALU_DEP_1) | instskip(NEXT) | instid1(VALU_DEP_1)
	v_add_f64 v[124:125], v[164:165], v[156:157]
	v_add_f64 v[96:97], v[124:125], -v[156:157]
	v_cmp_le_f64_e32 vcc_lo, 0.5, v[124:125]
	s_delay_alu instid0(VALU_DEP_2) | instskip(SKIP_1) | instid1(VALU_DEP_1)
	v_add_f64 v[96:97], v[164:165], -v[96:97]
	v_cndmask_b32_e64 v27, 0, 0x3ff00000, vcc_lo
	v_add_f64 v[124:125], v[124:125], -v[26:27]
	v_add_co_ci_u32_e32 v27, vcc_lo, 0, v114, vcc_lo
	s_delay_alu instid0(VALU_DEP_4) | instskip(NEXT) | instid1(VALU_DEP_1)
	v_add_f64 v[94:95], v[94:95], v[96:97]
	v_add_f64 v[96:97], v[124:125], v[94:95]
	s_delay_alu instid0(VALU_DEP_1) | instskip(SKIP_1) | instid1(VALU_DEP_2)
	v_mul_f64 v[130:131], v[96:97], s[94:95]
	v_add_f64 v[124:125], v[96:97], -v[124:125]
	v_fma_f64 v[156:157], v[96:97], s[94:95], -v[130:131]
	s_delay_alu instid0(VALU_DEP_2) | instskip(NEXT) | instid1(VALU_DEP_2)
	v_add_f64 v[94:95], v[94:95], -v[124:125]
	v_fma_f64 v[96:97], v[96:97], s[100:101], v[156:157]
	s_delay_alu instid0(VALU_DEP_1) | instskip(NEXT) | instid1(VALU_DEP_1)
	v_fma_f64 v[94:95], v[94:95], s[94:95], v[96:97]
	v_add_f64 v[124:125], v[130:131], v[94:95]
	s_delay_alu instid0(VALU_DEP_1) | instskip(NEXT) | instid1(VALU_DEP_1)
	v_add_f64 v[96:97], v[124:125], -v[130:131]
	v_add_f64 v[130:131], v[94:95], -v[96:97]
	s_or_saveexec_b32 s1, s1
	v_add_f64 v[156:157], v[102:103], v[102:103]
	s_xor_b32 exec_lo, exec_lo, s1
	s_cbranch_execnz .LBB1_132
	s_branch .LBB1_133
.LBB1_131:                              ;   in Loop: Header=BB1_93 Depth=3
	s_or_saveexec_b32 s1, s1
	v_add_f64 v[156:157], v[102:103], v[102:103]
	s_xor_b32 exec_lo, exec_lo, s1
	s_cbranch_execz .LBB1_133
.LBB1_132:                              ;   in Loop: Header=BB1_93 Depth=3
	v_mul_f64 v[94:95], |v[122:123]|, s[102:103]
	s_mov_b32 s98, s10
	s_delay_alu instid0(VALU_DEP_1) | instskip(NEXT) | instid1(VALU_DEP_1)
	v_rndne_f64_e32 v[94:95], v[94:95]
	v_fma_f64 v[96:97], v[94:95], s[96:97], |v[122:123]|
	v_mul_f64 v[124:125], v[94:95], s[10:11]
	v_cvt_i32_f64_e32 v27, v[94:95]
	s_delay_alu instid0(VALU_DEP_3) | instskip(NEXT) | instid1(VALU_DEP_3)
	v_fma_f64 v[158:159], v[94:95], s[10:11], v[96:97]
	v_add_f64 v[130:131], v[96:97], v[124:125]
	s_delay_alu instid0(VALU_DEP_1) | instskip(NEXT) | instid1(VALU_DEP_3)
	v_add_f64 v[96:97], v[96:97], -v[130:131]
	v_add_f64 v[130:131], v[130:131], -v[158:159]
	s_delay_alu instid0(VALU_DEP_2) | instskip(SKIP_1) | instid1(VALU_DEP_2)
	v_add_f64 v[96:97], v[96:97], v[124:125]
	v_fma_f64 v[124:125], v[94:95], s[98:99], v[124:125]
	v_add_f64 v[96:97], v[130:131], v[96:97]
	s_delay_alu instid0(VALU_DEP_1) | instskip(NEXT) | instid1(VALU_DEP_1)
	v_add_f64 v[96:97], v[96:97], -v[124:125]
	v_fma_f64 v[96:97], v[94:95], s[6:7], v[96:97]
	s_delay_alu instid0(VALU_DEP_1) | instskip(NEXT) | instid1(VALU_DEP_1)
	v_add_f64 v[124:125], v[158:159], v[96:97]
	v_add_f64 v[130:131], v[124:125], -v[158:159]
	s_delay_alu instid0(VALU_DEP_1)
	v_add_f64 v[130:131], v[96:97], -v[130:131]
.LBB1_133:                              ;   in Loop: Header=BB1_93 Depth=3
	s_or_b32 exec_lo, exec_lo, s1
	v_add_f64 v[98:99], v[98:99], -v[150:151]
	v_mul_f64 v[174:175], s[8:9], v[150:151]
	v_fma_f64 v[94:95], v[78:79], s[54:55], v[14:15]
	v_mul_f64 v[162:163], v[76:77], s[78:79]
	v_mul_f64 v[154:155], v[154:155], v[106:107]
	;; [unrolled: 1-line block ×6, first 2 shown]
	v_add_f64 v[106:107], v[106:107], -v[156:157]
	v_add_f64 v[104:105], v[6:7], v[104:105]
	v_add_f64 v[102:103], v[102:103], -1.0
	s_mov_b32 s66, s56
	s_mov_b32 s38, s60
	v_and_b32_e32 v114, 1, v160
	s_mov_b32 s1, -1
	v_mul_f64 v[98:99], v[18:19], v[98:99]
	v_fma_f64 v[158:159], 0x40040000, v[112:113], v[94:95]
	v_mul_f64 v[94:95], v[52:53], -v[54:55]
	v_mul_f64 v[166:167], v[96:97], s[78:79]
	v_mul_f64 v[106:107], v[18:19], v[106:107]
	;; [unrolled: 1-line block ×3, first 2 shown]
	v_div_scale_f64 v[176:177], null, v[100:101], v[100:101], v[98:99]
	v_fma_f64 v[158:159], v[88:89], s[56:57], v[158:159]
	v_mul_f64 v[168:169], v[94:95], s[78:79]
	s_delay_alu instid0(VALU_DEP_3) | instskip(SKIP_2) | instid1(VALU_DEP_1)
	v_rcp_f64_e32 v[178:179], v[176:177]
	s_waitcnt_depctr 0xfff
	v_fma_f64 v[180:181], -v[176:177], v[178:179], 1.0
	v_fma_f64 v[178:179], v[178:179], v[180:181], v[178:179]
	s_delay_alu instid0(VALU_DEP_1) | instskip(NEXT) | instid1(VALU_DEP_1)
	v_fma_f64 v[180:181], -v[176:177], v[178:179], 1.0
	v_fma_f64 v[178:179], v[178:179], v[180:181], v[178:179]
	v_div_scale_f64 v[180:181], vcc_lo, v[98:99], v[100:101], v[98:99]
	s_delay_alu instid0(VALU_DEP_1) | instskip(NEXT) | instid1(VALU_DEP_1)
	v_mul_f64 v[182:183], v[180:181], v[178:179]
	v_fma_f64 v[176:177], -v[176:177], v[182:183], v[180:181]
	s_delay_alu instid0(VALU_DEP_1) | instskip(NEXT) | instid1(VALU_DEP_1)
	v_div_fmas_f64 v[176:177], v[176:177], v[178:179], v[182:183]
	v_div_fixup_f64 v[98:99], v[176:177], v[100:101], v[98:99]
	v_fma_f64 v[100:101], -v[18:19], v[174:175], v[152:153]
	s_delay_alu instid0(VALU_DEP_2) | instskip(NEXT) | instid1(VALU_DEP_2)
	v_fma_f64 v[98:99], s[8:9], v[150:151], v[98:99]
	v_fma_f64 v[100:101], v[100:101], v[148:149], 1.0
	v_fma_f64 v[150:151], v[80:81], s[80:81], -v[164:165]
	v_fma_f64 v[164:165], v[88:89], s[80:81], -v[170:171]
	s_delay_alu instid0(VALU_DEP_4) | instskip(NEXT) | instid1(VALU_DEP_4)
	v_mul_f64 v[98:99], v[148:149], -v[98:99]
	v_mul_f64 v[100:101], v[52:53], -v[100:101]
	v_fma_f64 v[148:149], v[86:87], s[80:81], -v[162:163]
	s_delay_alu instid0(VALU_DEP_3) | instskip(NEXT) | instid1(VALU_DEP_3)
	v_mul_f64 v[98:99], v[52:53], v[98:99]
	v_fma_f64 v[162:163], v[100:101], s[80:81], -v[168:169]
	v_div_scale_f64 v[168:169], null, v[154:155], v[154:155], 1.0
	s_delay_alu instid0(VALU_DEP_3) | instskip(SKIP_1) | instid1(VALU_DEP_3)
	v_fma_f64 v[152:153], v[98:99], s[80:81], -v[166:167]
	v_fma_f64 v[166:167], v[82:83], s[80:81], -v[172:173]
	v_rcp_f64_e32 v[170:171], v[168:169]
	s_waitcnt_depctr 0xfff
	v_fma_f64 v[172:173], -v[168:169], v[170:171], 1.0
	s_delay_alu instid0(VALU_DEP_1) | instskip(NEXT) | instid1(VALU_DEP_1)
	v_fma_f64 v[170:171], v[170:171], v[172:173], v[170:171]
	v_fma_f64 v[172:173], -v[168:169], v[170:171], 1.0
	s_delay_alu instid0(VALU_DEP_1) | instskip(SKIP_1) | instid1(VALU_DEP_1)
	v_fma_f64 v[170:171], v[170:171], v[172:173], v[170:171]
	v_div_scale_f64 v[172:173], vcc_lo, 1.0, v[154:155], 1.0
	v_mul_f64 v[174:175], v[172:173], v[170:171]
	s_delay_alu instid0(VALU_DEP_1) | instskip(NEXT) | instid1(VALU_DEP_1)
	v_fma_f64 v[168:169], -v[168:169], v[174:175], v[172:173]
	v_div_fmas_f64 v[168:169], v[168:169], v[170:171], v[174:175]
	v_div_scale_f64 v[170:171], null, v[144:145], v[144:145], v[106:107]
	s_delay_alu instid0(VALU_DEP_2) | instskip(NEXT) | instid1(VALU_DEP_2)
	v_div_fixup_f64 v[154:155], v[168:169], v[154:155], 1.0
	v_rcp_f64_e32 v[172:173], v[170:171]
	v_mul_f64 v[168:169], s[8:9], v[156:157]
	s_waitcnt_depctr 0xfff
	v_fma_f64 v[174:175], -v[170:171], v[172:173], 1.0
	s_delay_alu instid0(VALU_DEP_1) | instskip(NEXT) | instid1(VALU_DEP_1)
	v_fma_f64 v[172:173], v[172:173], v[174:175], v[172:173]
	v_fma_f64 v[174:175], -v[170:171], v[172:173], 1.0
	s_delay_alu instid0(VALU_DEP_1) | instskip(SKIP_1) | instid1(VALU_DEP_1)
	v_fma_f64 v[172:173], v[172:173], v[174:175], v[172:173]
	v_div_scale_f64 v[174:175], vcc_lo, v[106:107], v[144:145], v[106:107]
	v_mul_f64 v[176:177], v[174:175], v[172:173]
	s_delay_alu instid0(VALU_DEP_1) | instskip(NEXT) | instid1(VALU_DEP_1)
	v_fma_f64 v[170:171], -v[170:171], v[176:177], v[174:175]
	v_div_fmas_f64 v[170:171], v[170:171], v[172:173], v[176:177]
	v_cmp_eq_u32_e32 vcc_lo, 0, v114
	s_delay_alu instid0(VALU_DEP_2) | instskip(SKIP_2) | instid1(VALU_DEP_3)
	v_div_fixup_f64 v[106:107], v[170:171], v[144:145], v[106:107]
	v_fma_f64 v[144:145], -v[18:19], v[168:169], v[104:105]
	v_fma_f64 v[104:105], -v[22:23], v[102:103], v[104:105]
	v_fma_f64 v[106:107], s[8:9], v[156:157], v[106:107]
	v_add_f64 v[156:157], v[146:147], v[146:147]
	s_delay_alu instid0(VALU_DEP_4) | instskip(NEXT) | instid1(VALU_DEP_4)
	v_fma_f64 v[144:145], v[144:145], v[154:155], 1.0
	v_add_f64 v[104:105], v[104:105], -v[28:29]
	s_delay_alu instid0(VALU_DEP_4) | instskip(NEXT) | instid1(VALU_DEP_4)
	v_mul_f64 v[106:107], v[154:155], -v[106:107]
	v_mul_f64 v[146:147], v[146:147], v[156:157]
	v_mul_f64 v[156:157], v[116:117], v[116:117]
	s_delay_alu instid0(VALU_DEP_2) | instskip(NEXT) | instid1(VALU_DEP_2)
	v_mul_f64 v[102:103], v[102:103], v[146:147]
	v_fma_f64 v[168:169], v[156:157], s[16:17], s[14:15]
	v_fma_f64 v[146:147], v[92:93], s[82:83], v[148:149]
	;; [unrolled: 1-line block ×4, first 2 shown]
	v_mul_f64 v[166:167], v[156:157], v[156:157]
	v_mul_f64 v[102:103], v[102:103], v[120:121]
	v_fma_f64 v[168:169], v[156:157], v[168:169], s[18:19]
	s_delay_alu instid0(VALU_DEP_2) | instskip(SKIP_2) | instid1(VALU_DEP_4)
	v_fma_f64 v[154:155], v[104:105], v[154:155], -v[102:103]
	v_mul_f64 v[104:105], v[52:53], -v[144:145]
	v_mul_f64 v[102:103], v[52:53], v[106:107]
	v_fma_f64 v[168:169], v[156:157], v[168:169], s[20:21]
	s_delay_alu instid0(VALU_DEP_4) | instskip(NEXT) | instid1(VALU_DEP_4)
	v_mul_f64 v[106:107], v[52:53], -v[154:155]
	v_fma_f64 v[144:145], v[104:105], s[82:83], v[162:163]
	v_fma_f64 v[162:163], v[156:157], s[28:29], s[26:27]
	;; [unrolled: 1-line block ×7, first 2 shown]
	v_mul_f64 v[158:159], v[116:117], -v[156:157]
	v_mul_f64 v[164:165], v[118:119], 0.5
	s_delay_alu instid0(VALU_DEP_3) | instskip(NEXT) | instid1(VALU_DEP_1)
	v_fma_f64 v[162:163], v[156:157], v[162:163], s[34:35]
	v_fma_f64 v[162:163], v[156:157], v[162:163], s[36:37]
	s_delay_alu instid0(VALU_DEP_1) | instskip(NEXT) | instid1(VALU_DEP_1)
	v_fma_f64 v[162:163], v[158:159], v[162:163], v[164:165]
	v_fma_f64 v[162:163], v[156:157], v[162:163], -v[118:119]
	s_delay_alu instid0(VALU_DEP_1) | instskip(SKIP_2) | instid1(VALU_DEP_3)
	v_fma_f64 v[158:159], v[158:159], s[38:39], v[162:163]
	v_mul_f64 v[162:163], v[156:157], 0.5
	v_fma_f64 v[156:157], v[156:157], v[168:169], s[60:61]
	v_add_f64 v[158:159], v[116:117], -v[158:159]
	s_delay_alu instid0(VALU_DEP_3) | instskip(NEXT) | instid1(VALU_DEP_1)
	v_add_f64 v[164:165], -v[162:163], 1.0
	v_add_f64 v[168:169], -v[164:165], 1.0
	s_delay_alu instid0(VALU_DEP_1) | instskip(NEXT) | instid1(VALU_DEP_1)
	v_add_f64 v[162:163], v[168:169], -v[162:163]
	v_fma_f64 v[116:117], v[116:117], -v[118:119], v[162:163]
	v_add_f64 v[118:119], v[128:129], v[128:129]
	s_delay_alu instid0(VALU_DEP_2) | instskip(SKIP_2) | instid1(VALU_DEP_3)
	v_fma_f64 v[116:117], v[166:167], v[156:157], v[116:117]
	v_fma_f64 v[156:157], v[128:129], -2.0, v[136:137]
	v_add_f64 v[136:137], v[6:7], v[136:137]
	v_add_f64 v[116:117], v[164:165], v[116:117]
	s_delay_alu instid0(VALU_DEP_3) | instskip(NEXT) | instid1(VALU_DEP_2)
	v_add_f64 v[156:157], v[6:7], v[156:157]
	v_cndmask_b32_e32 v114, v116, v158, vcc_lo
	s_delay_alu instid0(VALU_DEP_3) | instskip(NEXT) | instid1(VALU_DEP_3)
	v_cndmask_b32_e32 v116, v117, v159, vcc_lo
	v_mul_f64 v[158:159], v[156:157], v[138:139]
	v_fma_f64 v[138:139], v[128:129], -2.0, v[138:139]
	v_lshlrev_b32_e32 v117, 30, v160
	v_cndmask_b32_e64 v114, 0, v114, s0
	v_mul_f64 v[156:157], v[156:157], -v[154:155]
	v_add_f64 v[128:129], v[128:129], -1.0
	s_delay_alu instid0(VALU_DEP_4) | instskip(NEXT) | instid1(VALU_DEP_1)
	v_xor_b32_e32 v115, v117, v115
	v_and_b32_e32 v115, 0x80000000, v115
	s_delay_alu instid0(VALU_DEP_1) | instskip(NEXT) | instid1(VALU_DEP_1)
	v_xor_b32_e32 v115, v116, v115
	v_cndmask_b32_e64 v115, 0x7ff80000, v115, s0
	s_delay_alu instid0(VALU_DEP_1) | instskip(SKIP_4) | instid1(VALU_DEP_4)
	v_mul_f64 v[116:117], v[114:115], v[114:115]
	v_cmp_gt_f64_e64 s0, s[12:13], v[114:115]
	v_div_scale_f64 v[162:163], null, v[158:159], v[158:159], 1.0
	v_mul_f64 v[138:139], v[18:19], v[138:139]
	v_mul_f64 v[156:157], v[156:157], v[140:141]
	v_cndmask_b32_e64 v117, v117, 0x3c9cd2b2, s0
	v_cndmask_b32_e64 v116, v116, 0x97d889bc, s0
	;; [unrolled: 1-line block ×4, first 2 shown]
	s_delay_alu instid0(VALU_DEP_1) | instskip(SKIP_3) | instid1(VALU_DEP_1)
	v_mul_f64 v[114:115], -v[114:115], v[126:127]
	v_rcp_f64_e32 v[164:165], v[162:163]
	s_waitcnt_depctr 0xfff
	v_fma_f64 v[166:167], -v[162:163], v[164:165], 1.0
	v_fma_f64 v[164:165], v[164:165], v[166:167], v[164:165]
	s_delay_alu instid0(VALU_DEP_1) | instskip(NEXT) | instid1(VALU_DEP_1)
	v_fma_f64 v[166:167], -v[162:163], v[164:165], 1.0
	v_fma_f64 v[164:165], v[164:165], v[166:167], v[164:165]
	v_div_scale_f64 v[166:167], vcc_lo, 1.0, v[158:159], 1.0
	s_delay_alu instid0(VALU_DEP_1) | instskip(NEXT) | instid1(VALU_DEP_1)
	v_mul_f64 v[168:169], v[166:167], v[164:165]
	v_fma_f64 v[162:163], -v[162:163], v[168:169], v[166:167]
	s_delay_alu instid0(VALU_DEP_1) | instskip(SKIP_1) | instid1(VALU_DEP_2)
	v_div_fmas_f64 v[162:163], v[162:163], v[164:165], v[168:169]
	v_div_scale_f64 v[164:165], null, v[116:117], v[116:117], v[138:139]
	v_div_fixup_f64 v[158:159], v[162:163], v[158:159], 1.0
	s_delay_alu instid0(VALU_DEP_2) | instskip(SKIP_3) | instid1(VALU_DEP_1)
	v_rcp_f64_e32 v[166:167], v[164:165]
	v_mul_f64 v[162:163], s[8:9], v[118:119]
	s_waitcnt_depctr 0xfff
	v_fma_f64 v[168:169], -v[164:165], v[166:167], 1.0
	v_fma_f64 v[166:167], v[166:167], v[168:169], v[166:167]
	s_delay_alu instid0(VALU_DEP_1) | instskip(NEXT) | instid1(VALU_DEP_1)
	v_fma_f64 v[168:169], -v[164:165], v[166:167], 1.0
	v_fma_f64 v[166:167], v[166:167], v[168:169], v[166:167]
	v_div_scale_f64 v[168:169], vcc_lo, v[138:139], v[116:117], v[138:139]
	s_delay_alu instid0(VALU_DEP_1) | instskip(NEXT) | instid1(VALU_DEP_1)
	v_mul_f64 v[170:171], v[168:169], v[166:167]
	v_fma_f64 v[164:165], -v[164:165], v[170:171], v[168:169]
	s_delay_alu instid0(VALU_DEP_1) | instskip(NEXT) | instid1(VALU_DEP_1)
	v_div_fmas_f64 v[164:165], v[164:165], v[166:167], v[170:171]
	v_div_fixup_f64 v[138:139], v[164:165], v[116:117], v[138:139]
	v_mul_f64 v[116:117], v[116:117], v[116:117]
	s_delay_alu instid0(VALU_DEP_2) | instskip(SKIP_1) | instid1(VALU_DEP_2)
	v_fma_f64 v[138:139], s[8:9], v[118:119], v[138:139]
	v_mul_f64 v[118:119], v[118:119], v[136:137]
	v_mul_f64 v[138:139], v[158:159], v[138:139]
	s_delay_alu instid0(VALU_DEP_2) | instskip(SKIP_2) | instid1(VALU_DEP_3)
	v_fma_f64 v[136:137], -v[18:19], v[162:163], v[118:119]
	v_add_f64 v[162:163], v[154:155], v[154:155]
	v_fma_f64 v[118:119], -v[22:23], v[128:129], v[118:119]
	v_fma_f64 v[136:137], v[136:137], v[158:159], 1.0
	s_delay_alu instid0(VALU_DEP_3) | instskip(NEXT) | instid1(VALU_DEP_3)
	v_mul_f64 v[154:155], v[154:155], v[162:163]
	v_add_f64 v[118:119], v[118:119], -v[28:29]
	s_delay_alu instid0(VALU_DEP_2) | instskip(NEXT) | instid1(VALU_DEP_1)
	v_mul_f64 v[128:129], v[128:129], v[154:155]
	v_mul_f64 v[128:129], v[128:129], v[140:141]
	s_delay_alu instid0(VALU_DEP_1) | instskip(SKIP_1) | instid1(VALU_DEP_1)
	v_fma_f64 v[128:129], v[118:119], v[158:159], -v[128:129]
	v_div_scale_f64 v[118:119], null, v[116:117], v[116:117], v[20:21]
	v_rcp_f64_e32 v[126:127], v[118:119]
	s_waitcnt_depctr 0xfff
	v_fma_f64 v[154:155], -v[118:119], v[126:127], 1.0
	s_delay_alu instid0(VALU_DEP_1) | instskip(NEXT) | instid1(VALU_DEP_1)
	v_fma_f64 v[126:127], v[126:127], v[154:155], v[126:127]
	v_fma_f64 v[154:155], -v[118:119], v[126:127], 1.0
	s_delay_alu instid0(VALU_DEP_1) | instskip(SKIP_1) | instid1(VALU_DEP_1)
	v_fma_f64 v[126:127], v[126:127], v[154:155], v[126:127]
	v_div_scale_f64 v[154:155], vcc_lo, v[20:21], v[116:117], v[20:21]
	v_mul_f64 v[158:159], v[154:155], v[126:127]
	s_delay_alu instid0(VALU_DEP_1) | instskip(SKIP_1) | instid1(VALU_DEP_2)
	v_fma_f64 v[118:119], -v[118:119], v[158:159], v[154:155]
	v_mul_f64 v[154:155], v[52:53], v[156:157]
	v_div_fmas_f64 v[118:119], v[118:119], v[126:127], v[158:159]
	s_mov_b32 vcc_lo, s84
	s_delay_alu instid0(VALU_DEP_1) | instskip(SKIP_2) | instid1(VALU_DEP_3)
	v_div_fixup_f64 v[116:117], v[118:119], v[116:117], v[20:21]
	v_mul_f64 v[118:119], v[52:53], v[138:139]
	v_mul_f64 v[138:139], v[52:53], -v[128:129]
	v_add_f64 v[116:117], v[116:117], -v[6:7]
	s_delay_alu instid0(VALU_DEP_3) | instskip(SKIP_1) | instid1(VALU_DEP_4)
	v_fma_f64 v[118:119], v[118:119], vcc, v[120:121]
	v_mul_f64 v[120:121], v[52:53], v[136:137]
	v_fma_f64 v[126:127], v[138:139], s[84:85], v[152:153]
	s_delay_alu instid0(VALU_DEP_4) | instskip(SKIP_1) | instid1(VALU_DEP_4)
	v_mul_f64 v[114:115], v[116:117], v[114:115]
	v_fma_f64 v[116:117], v[154:155], s[84:85], v[146:147]
	v_fma_f64 v[120:121], v[120:121], vcc, v[144:145]
	v_cmp_class_f64_e64 vcc_lo, v[122:123], 0x1f8
	v_lshlrev_b32_e32 v122, 30, v161
	s_delay_alu instid0(VALU_DEP_1) | instskip(NEXT) | instid1(VALU_DEP_1)
	v_xor_b32_e32 v122, v122, v123
	v_and_b32_e32 v122, 0x80000000, v122
	v_mul_f64 v[140:141], v[114:115], v[140:141]
	v_fma_f64 v[114:115], v[142:143], s[84:85], v[148:149]
	v_mul_f64 v[142:143], v[134:135], 0.5
	s_delay_alu instid0(VALU_DEP_3) | instskip(SKIP_1) | instid1(VALU_DEP_2)
	v_mul_f64 v[136:137], v[52:53], v[140:141]
	v_fma_f64 v[140:141], v[74:75], s[58:59], v[16:17]
	v_fma_f64 v[128:129], v[136:137], s[84:85], v[150:151]
	s_delay_alu instid0(VALU_DEP_2) | instskip(NEXT) | instid1(VALU_DEP_1)
	v_fma_f64 v[110:111], 0x3fd5e000, v[110:111], v[140:141]
	v_fma_f64 v[110:111], v[82:83], s[74:75], v[110:111]
	s_delay_alu instid0(VALU_DEP_1) | instskip(NEXT) | instid1(VALU_DEP_1)
	v_fma_f64 v[110:111], v[90:91], s[76:77], v[110:111]
	v_fma_f64 v[136:137], 0x3fafa000, v[136:137], v[110:111]
	;; [unrolled: 1-line block ×3, first 2 shown]
	s_delay_alu instid0(VALU_DEP_1) | instskip(SKIP_1) | instid1(VALU_DEP_2)
	v_fma_f64 v[110:111], 0x3fd5e000, v[112:113], v[110:111]
	v_fma_f64 v[112:113], v[76:77], s[58:59], v[2:3]
	;; [unrolled: 1-line block ×3, first 2 shown]
	s_delay_alu instid0(VALU_DEP_2) | instskip(SKIP_1) | instid1(VALU_DEP_1)
	v_fma_f64 v[108:109], 0x3fd5e000, v[108:109], v[112:113]
	v_and_b32_e32 v112, 1, v161
	v_cmp_eq_u32_e64 s0, 0, v112
	v_mul_f64 v[112:113], v[132:133], v[132:133]
	v_fma_f64 v[110:111], v[106:107], s[76:77], v[110:111]
	v_fma_f64 v[108:109], v[86:87], s[74:75], v[108:109]
	s_delay_alu instid0(VALU_DEP_3)
	v_fma_f64 v[140:141], v[112:113], s[28:29], s[26:27]
	v_fma_f64 v[146:147], v[112:113], s[16:17], s[14:15]
	v_mul_f64 v[144:145], v[112:113], v[112:113]
	v_fma_f64 v[110:111], 0x3fafa000, v[138:139], v[110:111]
	v_mul_f64 v[138:139], v[132:133], -v[112:113]
	v_fma_f64 v[108:109], v[92:93], s[76:77], v[108:109]
	v_fma_f64 v[140:141], v[112:113], v[140:141], s[30:31]
	;; [unrolled: 1-line block ×3, first 2 shown]
	s_delay_alu instid0(VALU_DEP_3) | instskip(NEXT) | instid1(VALU_DEP_3)
	v_fma_f64 v[108:109], 0x3fafa000, v[154:155], v[108:109]
	v_fma_f64 v[140:141], v[112:113], v[140:141], s[34:35]
	s_delay_alu instid0(VALU_DEP_3) | instskip(NEXT) | instid1(VALU_DEP_2)
	v_fma_f64 v[146:147], v[112:113], v[146:147], s[20:21]
	v_fma_f64 v[140:141], v[112:113], v[140:141], s[36:37]
	s_delay_alu instid0(VALU_DEP_2) | instskip(NEXT) | instid1(VALU_DEP_2)
	v_fma_f64 v[146:147], v[112:113], v[146:147], s[22:23]
	v_fma_f64 v[140:141], v[138:139], v[140:141], v[142:143]
	s_delay_alu instid0(VALU_DEP_1) | instskip(NEXT) | instid1(VALU_DEP_1)
	v_fma_f64 v[140:141], v[112:113], v[140:141], -v[134:135]
	v_fma_f64 v[138:139], v[138:139], s[38:39], v[140:141]
	v_mul_f64 v[140:141], v[112:113], 0.5
	v_fma_f64 v[112:113], v[112:113], v[146:147], s[60:61]
	s_delay_alu instid0(VALU_DEP_3) | instskip(NEXT) | instid1(VALU_DEP_3)
	v_add_f64 v[138:139], v[132:133], -v[138:139]
	v_add_f64 v[142:143], -v[140:141], 1.0
	s_delay_alu instid0(VALU_DEP_1) | instskip(NEXT) | instid1(VALU_DEP_1)
	v_add_f64 v[146:147], -v[142:143], 1.0
	v_add_f64 v[140:141], v[146:147], -v[140:141]
	s_delay_alu instid0(VALU_DEP_1) | instskip(NEXT) | instid1(VALU_DEP_1)
	v_fma_f64 v[132:133], v[132:133], -v[134:135], v[140:141]
	v_fma_f64 v[112:113], v[144:145], v[112:113], v[132:133]
	s_delay_alu instid0(VALU_DEP_1) | instskip(NEXT) | instid1(VALU_DEP_1)
	v_add_f64 v[112:113], v[142:143], v[112:113]
	v_cndmask_b32_e64 v113, v113, v139, s0
	s_delay_alu instid0(VALU_DEP_2) | instskip(NEXT) | instid1(VALU_DEP_2)
	v_cndmask_b32_e64 v112, v112, v138, s0
	v_xor_b32_e32 v113, v113, v122
	v_mul_f64 v[122:123], v[124:125], v[124:125]
	s_delay_alu instid0(VALU_DEP_3) | instskip(NEXT) | instid1(VALU_DEP_3)
	v_cndmask_b32_e32 v112, 0, v112, vcc_lo
	v_cndmask_b32_e32 v113, 0x7ff80000, v113, vcc_lo
	s_delay_alu instid0(VALU_DEP_3) | instskip(SKIP_1) | instid1(VALU_DEP_2)
	v_mul_f64 v[132:133], v[122:123], 0.5
	v_fma_f64 v[140:141], v[122:123], s[16:17], s[14:15]
	v_add_f64 v[134:135], -v[132:133], 1.0
	s_delay_alu instid0(VALU_DEP_2) | instskip(NEXT) | instid1(VALU_DEP_2)
	v_fma_f64 v[140:141], v[122:123], v[140:141], s[18:19]
	v_add_f64 v[138:139], -v[134:135], 1.0
	s_delay_alu instid0(VALU_DEP_2) | instskip(NEXT) | instid1(VALU_DEP_2)
	v_fma_f64 v[140:141], v[122:123], v[140:141], s[20:21]
	v_add_f64 v[132:133], v[138:139], -v[132:133]
	s_delay_alu instid0(VALU_DEP_2) | instskip(SKIP_1) | instid1(VALU_DEP_3)
	v_fma_f64 v[140:141], v[122:123], v[140:141], s[22:23]
	v_mul_f64 v[138:139], v[122:123], v[122:123]
	v_fma_f64 v[132:133], v[124:125], -v[130:131], v[132:133]
	s_delay_alu instid0(VALU_DEP_3) | instskip(NEXT) | instid1(VALU_DEP_1)
	v_fma_f64 v[140:141], v[122:123], v[140:141], s[60:61]
	v_fma_f64 v[132:133], v[138:139], v[140:141], v[132:133]
	v_mul_f64 v[138:139], v[124:125], -v[122:123]
	v_mul_f64 v[140:141], v[130:131], 0.5
	s_delay_alu instid0(VALU_DEP_3) | instskip(SKIP_1) | instid1(VALU_DEP_1)
	v_add_f64 v[132:133], v[134:135], v[132:133]
	v_fma_f64 v[134:135], v[122:123], s[28:29], s[26:27]
	v_fma_f64 v[134:135], v[122:123], v[134:135], s[30:31]
	s_delay_alu instid0(VALU_DEP_1) | instskip(NEXT) | instid1(VALU_DEP_1)
	v_fma_f64 v[134:135], v[122:123], v[134:135], s[34:35]
	v_fma_f64 v[134:135], v[122:123], v[134:135], s[36:37]
	s_delay_alu instid0(VALU_DEP_1) | instskip(NEXT) | instid1(VALU_DEP_1)
	v_fma_f64 v[134:135], v[138:139], v[134:135], v[140:141]
	v_fma_f64 v[122:123], v[122:123], v[134:135], -v[130:131]
	s_delay_alu instid0(VALU_DEP_1) | instskip(SKIP_1) | instid1(VALU_DEP_2)
	v_fma_f64 v[122:123], v[138:139], s[38:39], v[122:123]
	v_add_f64 v[138:139], v[108:109], v[108:109]
	v_add_f64 v[122:123], v[124:125], -v[122:123]
	v_and_b32_e32 v124, 1, v27
	s_delay_alu instid0(VALU_DEP_1) | instskip(NEXT) | instid1(VALU_DEP_3)
	v_cmp_eq_u32_e64 s0, 0, v124
	v_xor_b32_e32 v123, 0x80000000, v123
	s_delay_alu instid0(VALU_DEP_2) | instskip(SKIP_1) | instid1(VALU_DEP_3)
	v_cndmask_b32_e64 v122, v122, v132, s0
	v_lshlrev_b32_e32 v27, 30, v27
	v_cndmask_b32_e64 v123, v123, v133, s0
	s_delay_alu instid0(VALU_DEP_2) | instskip(SKIP_1) | instid1(VALU_DEP_2)
	v_dual_cndmask_b32 v130, 0, v122 :: v_dual_and_b32 v27, 0x80000000, v27
	v_cmp_gt_f64_e64 s0, s[12:13], v[112:113]
	v_xor_b32_e32 v27, v123, v27
	v_mul_f64 v[122:123], v[112:113], v[112:113]
	s_delay_alu instid0(VALU_DEP_2) | instskip(NEXT) | instid1(VALU_DEP_2)
	v_cndmask_b32_e32 v131, 0x7ff80000, v27, vcc_lo
	v_cndmask_b32_e64 v133, v123, 0x3c9cd2b2, s0
	s_delay_alu instid0(VALU_DEP_3) | instskip(NEXT) | instid1(VALU_DEP_3)
	v_cndmask_b32_e64 v132, v122, 0x97d889bc, s0
	v_mul_f64 v[122:123], v[130:131], v[130:131]
	s_delay_alu instid0(VALU_DEP_1) | instskip(NEXT) | instid1(VALU_DEP_1)
	v_mul_f64 v[122:123], v[6:7], v[122:123]
	v_fma_f64 v[134:135], v[108:109], v[108:109], v[122:123]
	v_fma_f64 v[122:123], v[108:109], v[108:109], -v[138:139]
	s_delay_alu instid0(VALU_DEP_1) | instskip(NEXT) | instid1(VALU_DEP_1)
	v_add_f64 v[122:123], v[6:7], v[122:123]
	v_mul_f64 v[124:125], v[122:123], v[134:135]
	v_mul_f64 v[122:123], v[122:123], -v[110:111]
	s_delay_alu instid0(VALU_DEP_2) | instskip(NEXT) | instid1(VALU_DEP_1)
	v_div_scale_f64 v[140:141], null, v[124:125], v[124:125], 1.0
	v_rcp_f64_e32 v[142:143], v[140:141]
	s_waitcnt_depctr 0xfff
	v_fma_f64 v[144:145], -v[140:141], v[142:143], 1.0
	s_delay_alu instid0(VALU_DEP_1) | instskip(NEXT) | instid1(VALU_DEP_1)
	v_fma_f64 v[142:143], v[142:143], v[144:145], v[142:143]
	v_fma_f64 v[144:145], -v[140:141], v[142:143], 1.0
	s_delay_alu instid0(VALU_DEP_1) | instskip(SKIP_1) | instid1(VALU_DEP_1)
	v_fma_f64 v[142:143], v[142:143], v[144:145], v[142:143]
	v_div_scale_f64 v[144:145], vcc_lo, 1.0, v[124:125], 1.0
	v_mul_f64 v[146:147], v[144:145], v[142:143]
	s_delay_alu instid0(VALU_DEP_1) | instskip(NEXT) | instid1(VALU_DEP_1)
	v_fma_f64 v[140:141], -v[140:141], v[146:147], v[144:145]
	v_div_fmas_f64 v[140:141], v[140:141], v[142:143], v[146:147]
	s_delay_alu instid0(VALU_DEP_1) | instskip(SKIP_1) | instid1(VALU_DEP_1)
	v_div_fixup_f64 v[140:141], v[140:141], v[124:125], 1.0
	v_div_scale_f64 v[124:125], null, v[134:135], v[134:135], 1.0
	v_rcp_f64_e32 v[142:143], v[124:125]
	s_waitcnt_depctr 0xfff
	v_fma_f64 v[144:145], -v[124:125], v[142:143], 1.0
	s_delay_alu instid0(VALU_DEP_1) | instskip(NEXT) | instid1(VALU_DEP_1)
	v_fma_f64 v[142:143], v[142:143], v[144:145], v[142:143]
	v_fma_f64 v[144:145], -v[124:125], v[142:143], 1.0
	s_delay_alu instid0(VALU_DEP_1) | instskip(SKIP_1) | instid1(VALU_DEP_1)
	v_fma_f64 v[142:143], v[142:143], v[144:145], v[142:143]
	v_div_scale_f64 v[144:145], vcc_lo, 1.0, v[134:135], 1.0
	v_mul_f64 v[146:147], v[144:145], v[142:143]
	s_delay_alu instid0(VALU_DEP_1) | instskip(NEXT) | instid1(VALU_DEP_1)
	v_fma_f64 v[124:125], -v[124:125], v[146:147], v[144:145]
	v_div_fmas_f64 v[124:125], v[124:125], v[142:143], v[146:147]
	s_delay_alu instid0(VALU_DEP_1) | instskip(SKIP_1) | instid1(VALU_DEP_2)
	v_div_fixup_f64 v[142:143], v[124:125], v[134:135], 1.0
	v_fma_f64 v[134:135], v[108:109], -2.0, v[134:135]
	v_mul_f64 v[124:125], v[142:143], -v[136:137]
	s_delay_alu instid0(VALU_DEP_2) | instskip(SKIP_2) | instid1(VALU_DEP_3)
	v_mul_f64 v[134:135], v[18:19], v[134:135]
	v_mul_f64 v[136:137], s[8:9], v[138:139]
	;; [unrolled: 1-line block ×3, first 2 shown]
	v_div_scale_f64 v[144:145], null, v[132:133], v[132:133], v[134:135]
	s_delay_alu instid0(VALU_DEP_2) | instskip(NEXT) | instid1(VALU_DEP_2)
	v_mul_f64 v[122:123], v[52:53], v[122:123]
	v_rcp_f64_e32 v[146:147], v[144:145]
	s_waitcnt_depctr 0xfff
	v_fma_f64 v[148:149], -v[144:145], v[146:147], 1.0
	s_delay_alu instid0(VALU_DEP_1) | instskip(NEXT) | instid1(VALU_DEP_1)
	v_fma_f64 v[146:147], v[146:147], v[148:149], v[146:147]
	v_fma_f64 v[148:149], -v[144:145], v[146:147], 1.0
	s_delay_alu instid0(VALU_DEP_1) | instskip(SKIP_1) | instid1(VALU_DEP_1)
	v_fma_f64 v[146:147], v[146:147], v[148:149], v[146:147]
	v_div_scale_f64 v[148:149], vcc_lo, v[134:135], v[132:133], v[134:135]
	v_mul_f64 v[150:151], v[148:149], v[146:147]
	s_delay_alu instid0(VALU_DEP_1) | instskip(NEXT) | instid1(VALU_DEP_1)
	v_fma_f64 v[144:145], -v[144:145], v[150:151], v[148:149]
	v_div_fmas_f64 v[144:145], v[144:145], v[146:147], v[150:151]
	s_delay_alu instid0(VALU_DEP_1) | instskip(SKIP_2) | instid1(VALU_DEP_3)
	v_div_fixup_f64 v[134:135], v[144:145], v[132:133], v[134:135]
	v_fma_f64 v[144:145], v[108:109], v[108:109], v[6:7]
	v_add_f64 v[108:109], v[108:109], -1.0
	v_fma_f64 v[134:135], s[8:9], v[138:139], v[134:135]
	s_delay_alu instid0(VALU_DEP_3) | instskip(SKIP_1) | instid1(VALU_DEP_3)
	v_mul_f64 v[138:139], v[138:139], v[144:145]
	v_add_f64 v[144:145], v[110:111], v[110:111]
	v_mul_f64 v[134:135], v[140:141], -v[134:135]
	s_delay_alu instid0(VALU_DEP_3) | instskip(NEXT) | instid1(VALU_DEP_3)
	v_fma_f64 v[136:137], -v[18:19], v[136:137], v[138:139]
	v_mul_f64 v[110:111], v[110:111], v[144:145]
	v_fma_f64 v[138:139], -v[22:23], v[108:109], v[138:139]
	s_delay_alu instid0(VALU_DEP_3) | instskip(NEXT) | instid1(VALU_DEP_3)
	v_fma_f64 v[136:137], v[136:137], v[140:141], 1.0
	v_mul_f64 v[108:109], v[108:109], v[110:111]
	s_delay_alu instid0(VALU_DEP_3) | instskip(SKIP_1) | instid1(VALU_DEP_3)
	v_add_f64 v[138:139], v[138:139], -v[28:29]
	v_mul_f64 v[110:111], v[132:133], v[132:133]
	v_mul_f64 v[108:109], v[108:109], v[142:143]
	s_delay_alu instid0(VALU_DEP_1) | instskip(SKIP_4) | instid1(VALU_DEP_2)
	v_fma_f64 v[138:139], v[138:139], v[140:141], -v[108:109]
	v_cndmask_b32_e64 v109, v113, 0x3e45798e, s0
	v_cndmask_b32_e64 v108, v112, 0xe2308c3a, s0
	v_div_scale_f64 v[112:113], null, v[110:111], v[110:111], v[20:21]
	s_mov_b32 s0, exec_lo
	v_mul_f64 v[108:109], -v[108:109], v[130:131]
	s_delay_alu instid0(VALU_DEP_2) | instskip(SKIP_2) | instid1(VALU_DEP_1)
	v_rcp_f64_e32 v[130:131], v[112:113]
	s_waitcnt_depctr 0xfff
	v_fma_f64 v[132:133], -v[112:113], v[130:131], 1.0
	v_fma_f64 v[130:131], v[130:131], v[132:133], v[130:131]
	s_delay_alu instid0(VALU_DEP_1) | instskip(NEXT) | instid1(VALU_DEP_1)
	v_fma_f64 v[132:133], -v[112:113], v[130:131], 1.0
	v_fma_f64 v[130:131], v[130:131], v[132:133], v[130:131]
	v_div_scale_f64 v[132:133], vcc_lo, v[20:21], v[110:111], v[20:21]
	s_delay_alu instid0(VALU_DEP_1) | instskip(NEXT) | instid1(VALU_DEP_1)
	v_mul_f64 v[140:141], v[132:133], v[130:131]
	v_fma_f64 v[112:113], -v[112:113], v[140:141], v[132:133]
	v_fma_f64 v[132:133], v[122:123], s[90:91], v[116:117]
	s_delay_alu instid0(VALU_DEP_2) | instskip(NEXT) | instid1(VALU_DEP_1)
	v_div_fmas_f64 v[112:113], v[112:113], v[130:131], v[140:141]
	v_div_fixup_f64 v[110:111], v[112:113], v[110:111], v[20:21]
	v_mul_f64 v[112:113], v[52:53], -v[136:137]
	s_delay_alu instid0(VALU_DEP_2) | instskip(NEXT) | instid1(VALU_DEP_2)
	v_add_f64 v[110:111], v[110:111], -v[6:7]
	v_fma_f64 v[136:137], v[112:113], s[90:91], v[120:121]
	s_delay_alu instid0(VALU_DEP_2) | instskip(SKIP_1) | instid1(VALU_DEP_2)
	v_mul_f64 v[108:109], v[110:111], v[108:109]
	v_mul_f64 v[110:111], v[52:53], v[134:135]
	;; [unrolled: 1-line block ×4, first 2 shown]
	s_delay_alu instid0(VALU_DEP_3) | instskip(NEXT) | instid1(VALU_DEP_3)
	v_fma_f64 v[134:135], v[110:111], s[90:91], v[118:119]
	v_mul_f64 v[116:117], v[52:53], v[130:131]
	s_delay_alu instid0(VALU_DEP_3) | instskip(SKIP_1) | instid1(VALU_DEP_3)
	v_fma_f64 v[124:125], v[108:109], s[90:91], v[114:115]
	v_mul_f64 v[114:115], v[52:53], -v[138:139]
	v_fma_f64 v[118:119], v[116:117], s[90:91], v[128:129]
	s_delay_alu instid0(VALU_DEP_2) | instskip(SKIP_1) | instid1(VALU_DEP_1)
	v_fma_f64 v[120:121], v[114:115], s[90:91], v[126:127]
	v_div_scale_f64 v[126:127], null, v[62:63], v[62:63], v[132:133]
	v_rcp_f64_e32 v[128:129], v[126:127]
	s_waitcnt_depctr 0xfff
	v_fma_f64 v[130:131], -v[126:127], v[128:129], 1.0
	s_delay_alu instid0(VALU_DEP_1) | instskip(NEXT) | instid1(VALU_DEP_1)
	v_fma_f64 v[128:129], v[128:129], v[130:131], v[128:129]
	v_fma_f64 v[130:131], -v[126:127], v[128:129], 1.0
	s_delay_alu instid0(VALU_DEP_1) | instskip(SKIP_1) | instid1(VALU_DEP_1)
	v_fma_f64 v[128:129], v[128:129], v[130:131], v[128:129]
	v_div_scale_f64 v[130:131], vcc_lo, v[132:133], v[62:63], v[132:133]
	v_mul_f64 v[138:139], v[130:131], v[128:129]
	s_delay_alu instid0(VALU_DEP_1) | instskip(NEXT) | instid1(VALU_DEP_1)
	v_fma_f64 v[126:127], -v[126:127], v[138:139], v[130:131]
	v_div_fmas_f64 v[126:127], v[126:127], v[128:129], v[138:139]
	v_div_scale_f64 v[128:129], null, v[64:65], v[64:65], v[124:125]
	s_delay_alu instid0(VALU_DEP_2) | instskip(NEXT) | instid1(VALU_DEP_2)
	v_div_fixup_f64 v[126:127], v[126:127], v[62:63], v[132:133]
	v_rcp_f64_e32 v[130:131], v[128:129]
	s_delay_alu instid0(VALU_DEP_1) | instskip(SKIP_2) | instid1(VALU_DEP_1)
	v_max_f64 v[126:127], |v[126:127]|, 0
	s_waitcnt_depctr 0xfff
	v_fma_f64 v[132:133], -v[128:129], v[130:131], 1.0
	v_fma_f64 v[130:131], v[130:131], v[132:133], v[130:131]
	s_delay_alu instid0(VALU_DEP_1) | instskip(NEXT) | instid1(VALU_DEP_1)
	v_fma_f64 v[132:133], -v[128:129], v[130:131], 1.0
	v_fma_f64 v[130:131], v[130:131], v[132:133], v[130:131]
	v_div_scale_f64 v[132:133], vcc_lo, v[124:125], v[64:65], v[124:125]
	s_delay_alu instid0(VALU_DEP_1) | instskip(NEXT) | instid1(VALU_DEP_1)
	v_mul_f64 v[138:139], v[132:133], v[130:131]
	v_fma_f64 v[128:129], -v[128:129], v[138:139], v[132:133]
	s_delay_alu instid0(VALU_DEP_1) | instskip(NEXT) | instid1(VALU_DEP_1)
	v_div_fmas_f64 v[128:129], v[128:129], v[130:131], v[138:139]
	v_div_fixup_f64 v[124:125], v[128:129], v[64:65], v[124:125]
	s_delay_alu instid0(VALU_DEP_1) | instskip(SKIP_1) | instid1(VALU_DEP_1)
	v_cmp_gt_f64_e64 vcc_lo, |v[124:125]|, v[126:127]
	v_dual_cndmask_b32 v124, v126, v124 :: v_dual_and_b32 v27, 0x7fffffff, v125
	v_cndmask_b32_e32 v125, v127, v27, vcc_lo
	v_div_scale_f64 v[126:127], null, v[66:67], v[66:67], v[134:135]
	s_delay_alu instid0(VALU_DEP_1) | instskip(SKIP_2) | instid1(VALU_DEP_1)
	v_rcp_f64_e32 v[128:129], v[126:127]
	s_waitcnt_depctr 0xfff
	v_fma_f64 v[130:131], -v[126:127], v[128:129], 1.0
	v_fma_f64 v[128:129], v[128:129], v[130:131], v[128:129]
	s_delay_alu instid0(VALU_DEP_1) | instskip(NEXT) | instid1(VALU_DEP_1)
	v_fma_f64 v[130:131], -v[126:127], v[128:129], 1.0
	v_fma_f64 v[128:129], v[128:129], v[130:131], v[128:129]
	v_div_scale_f64 v[130:131], vcc_lo, v[134:135], v[66:67], v[134:135]
	s_delay_alu instid0(VALU_DEP_1) | instskip(NEXT) | instid1(VALU_DEP_1)
	v_mul_f64 v[132:133], v[130:131], v[128:129]
	v_fma_f64 v[126:127], -v[126:127], v[132:133], v[130:131]
	s_delay_alu instid0(VALU_DEP_1) | instskip(NEXT) | instid1(VALU_DEP_1)
	v_div_fmas_f64 v[126:127], v[126:127], v[128:129], v[132:133]
	v_div_fixup_f64 v[126:127], v[126:127], v[66:67], v[134:135]
	s_delay_alu instid0(VALU_DEP_1) | instskip(SKIP_2) | instid1(VALU_DEP_2)
	v_cmp_gt_f64_e64 vcc_lo, |v[126:127]|, v[124:125]
	v_dual_cndmask_b32 v124, v124, v126 :: v_dual_and_b32 v27, 0x7fffffff, v127
	v_div_scale_f64 v[126:127], null, v[68:69], v[68:69], v[136:137]
	v_cndmask_b32_e32 v125, v125, v27, vcc_lo
	s_delay_alu instid0(VALU_DEP_2) | instskip(SKIP_2) | instid1(VALU_DEP_1)
	v_rcp_f64_e32 v[128:129], v[126:127]
	s_waitcnt_depctr 0xfff
	v_fma_f64 v[130:131], -v[126:127], v[128:129], 1.0
	v_fma_f64 v[128:129], v[128:129], v[130:131], v[128:129]
	s_delay_alu instid0(VALU_DEP_1) | instskip(NEXT) | instid1(VALU_DEP_1)
	v_fma_f64 v[130:131], -v[126:127], v[128:129], 1.0
	v_fma_f64 v[128:129], v[128:129], v[130:131], v[128:129]
	v_div_scale_f64 v[130:131], vcc_lo, v[136:137], v[68:69], v[136:137]
	s_delay_alu instid0(VALU_DEP_1) | instskip(NEXT) | instid1(VALU_DEP_1)
	v_mul_f64 v[132:133], v[130:131], v[128:129]
	v_fma_f64 v[126:127], -v[126:127], v[132:133], v[130:131]
	s_delay_alu instid0(VALU_DEP_1) | instskip(NEXT) | instid1(VALU_DEP_1)
	v_div_fmas_f64 v[126:127], v[126:127], v[128:129], v[132:133]
	v_div_fixup_f64 v[126:127], v[126:127], v[68:69], v[136:137]
	s_delay_alu instid0(VALU_DEP_1) | instskip(SKIP_2) | instid1(VALU_DEP_2)
	v_cmp_gt_f64_e64 vcc_lo, |v[126:127]|, v[124:125]
	v_dual_cndmask_b32 v124, v124, v126 :: v_dual_and_b32 v27, 0x7fffffff, v127
	v_div_scale_f64 v[126:127], null, v[70:71], v[70:71], v[120:121]
	v_cndmask_b32_e32 v125, v125, v27, vcc_lo
	s_delay_alu instid0(VALU_DEP_2) | instskip(SKIP_2) | instid1(VALU_DEP_1)
	v_rcp_f64_e32 v[128:129], v[126:127]
	s_waitcnt_depctr 0xfff
	v_fma_f64 v[130:131], -v[126:127], v[128:129], 1.0
	v_fma_f64 v[128:129], v[128:129], v[130:131], v[128:129]
	s_delay_alu instid0(VALU_DEP_1) | instskip(NEXT) | instid1(VALU_DEP_1)
	v_fma_f64 v[130:131], -v[126:127], v[128:129], 1.0
	v_fma_f64 v[128:129], v[128:129], v[130:131], v[128:129]
	v_div_scale_f64 v[130:131], vcc_lo, v[120:121], v[70:71], v[120:121]
	s_delay_alu instid0(VALU_DEP_1) | instskip(NEXT) | instid1(VALU_DEP_1)
	v_mul_f64 v[132:133], v[130:131], v[128:129]
	v_fma_f64 v[126:127], -v[126:127], v[132:133], v[130:131]
	s_delay_alu instid0(VALU_DEP_1) | instskip(NEXT) | instid1(VALU_DEP_1)
	v_div_fmas_f64 v[126:127], v[126:127], v[128:129], v[132:133]
	v_div_fixup_f64 v[120:121], v[126:127], v[70:71], v[120:121]
	s_delay_alu instid0(VALU_DEP_1) | instskip(SKIP_1) | instid1(VALU_DEP_1)
	v_cmp_gt_f64_e64 vcc_lo, |v[120:121]|, v[124:125]
	v_dual_cndmask_b32 v120, v124, v120 :: v_dual_and_b32 v27, 0x7fffffff, v121
	v_cndmask_b32_e32 v121, v125, v27, vcc_lo
	v_div_scale_f64 v[124:125], null, v[72:73], v[72:73], v[118:119]
	s_delay_alu instid0(VALU_DEP_1) | instskip(SKIP_2) | instid1(VALU_DEP_1)
	v_rcp_f64_e32 v[126:127], v[124:125]
	s_waitcnt_depctr 0xfff
	v_fma_f64 v[128:129], -v[124:125], v[126:127], 1.0
	v_fma_f64 v[126:127], v[126:127], v[128:129], v[126:127]
	s_delay_alu instid0(VALU_DEP_1) | instskip(NEXT) | instid1(VALU_DEP_1)
	v_fma_f64 v[128:129], -v[124:125], v[126:127], 1.0
	v_fma_f64 v[126:127], v[126:127], v[128:129], v[126:127]
	v_div_scale_f64 v[128:129], vcc_lo, v[118:119], v[72:73], v[118:119]
	s_delay_alu instid0(VALU_DEP_1) | instskip(NEXT) | instid1(VALU_DEP_1)
	v_mul_f64 v[130:131], v[128:129], v[126:127]
	v_fma_f64 v[124:125], -v[124:125], v[130:131], v[128:129]
	s_delay_alu instid0(VALU_DEP_1) | instskip(NEXT) | instid1(VALU_DEP_1)
	v_div_fmas_f64 v[124:125], v[124:125], v[126:127], v[130:131]
	v_div_fixup_f64 v[118:119], v[124:125], v[72:73], v[118:119]
	s_delay_alu instid0(VALU_DEP_1) | instskip(SKIP_1) | instid1(VALU_DEP_1)
	v_cmp_gt_f64_e64 vcc_lo, |v[118:119]|, v[120:121]
	v_dual_cndmask_b32 v118, v120, v118 :: v_dual_and_b32 v27, 0x7fffffff, v119
	v_cndmask_b32_e32 v119, v121, v27, vcc_lo
                                        ; implicit-def: $vgpr120_vgpr121
	s_delay_alu instid0(VALU_DEP_1) | instskip(NEXT) | instid1(VALU_DEP_1)
	v_mul_f64 v[118:119], v[118:119], s[92:93]
	v_cmpx_nge_f64_e32 1.0, v[118:119]
	s_cbranch_execz .LBB1_92
; %bb.134:                              ;   in Loop: Header=BB1_93 Depth=3
	v_cmp_gt_f64_e32 vcc_lo, 0x10000000, v[118:119]
	s_mov_b32 s68, s50
	s_mov_b32 s62, s42
	v_mul_f64 v[120:121], v[52:53], s[68:69]
	s_mov_b32 s1, exec_lo
	v_cndmask_b32_e64 v27, 0, 1, vcc_lo
	s_delay_alu instid0(VALU_DEP_1) | instskip(NEXT) | instid1(VALU_DEP_1)
	v_lshlrev_b32_e32 v27, 8, v27
	v_ldexp_f64 v[124:125], v[118:119], v27
	v_cndmask_b32_e64 v27, 0, 0xffffff80, vcc_lo
	s_delay_alu instid0(VALU_DEP_2) | instskip(SKIP_4) | instid1(VALU_DEP_1)
	v_rsq_f64_e32 v[126:127], v[124:125]
	v_cmp_class_f64_e64 vcc_lo, v[124:125], 0x260
	s_waitcnt_depctr 0xfff
	v_mul_f64 v[128:129], v[124:125], v[126:127]
	v_mul_f64 v[126:127], v[126:127], 0.5
	v_fma_f64 v[130:131], -v[126:127], v[128:129], 0.5
	s_delay_alu instid0(VALU_DEP_1) | instskip(SKIP_1) | instid1(VALU_DEP_2)
	v_fma_f64 v[128:129], v[128:129], v[130:131], v[128:129]
	v_fma_f64 v[126:127], v[126:127], v[130:131], v[126:127]
	v_fma_f64 v[132:133], -v[128:129], v[128:129], v[124:125]
	s_delay_alu instid0(VALU_DEP_1) | instskip(NEXT) | instid1(VALU_DEP_1)
	v_fma_f64 v[128:129], v[132:133], v[126:127], v[128:129]
	v_fma_f64 v[130:131], -v[128:129], v[128:129], v[124:125]
	s_delay_alu instid0(VALU_DEP_1) | instskip(NEXT) | instid1(VALU_DEP_1)
	v_fma_f64 v[126:127], v[130:131], v[126:127], v[128:129]
	v_ldexp_f64 v[126:127], v[126:127], v27
	s_delay_alu instid0(VALU_DEP_1) | instskip(NEXT) | instid1(VALU_DEP_1)
	v_dual_cndmask_b32 v124, v126, v124 :: v_dual_cndmask_b32 v125, v127, v125
	v_cmp_gt_f64_e32 vcc_lo, 0x10000000, v[124:125]
	v_cndmask_b32_e64 v27, 0, 1, vcc_lo
	s_delay_alu instid0(VALU_DEP_1) | instskip(NEXT) | instid1(VALU_DEP_1)
	v_lshlrev_b32_e32 v27, 8, v27
	v_ldexp_f64 v[124:125], v[124:125], v27
	v_cndmask_b32_e64 v27, 0, 0xffffff80, vcc_lo
	s_delay_alu instid0(VALU_DEP_2) | instskip(SKIP_4) | instid1(VALU_DEP_1)
	v_rsq_f64_e32 v[126:127], v[124:125]
	v_cmp_class_f64_e64 vcc_lo, v[124:125], 0x260
	s_waitcnt_depctr 0xfff
	v_mul_f64 v[128:129], v[124:125], v[126:127]
	v_mul_f64 v[126:127], v[126:127], 0.5
	v_fma_f64 v[130:131], -v[126:127], v[128:129], 0.5
	s_delay_alu instid0(VALU_DEP_1) | instskip(SKIP_1) | instid1(VALU_DEP_2)
	v_fma_f64 v[128:129], v[128:129], v[130:131], v[128:129]
	v_fma_f64 v[126:127], v[126:127], v[130:131], v[126:127]
	v_fma_f64 v[132:133], -v[128:129], v[128:129], v[124:125]
	s_delay_alu instid0(VALU_DEP_1) | instskip(NEXT) | instid1(VALU_DEP_1)
	v_fma_f64 v[128:129], v[132:133], v[126:127], v[128:129]
	v_fma_f64 v[130:131], -v[128:129], v[128:129], v[124:125]
	s_delay_alu instid0(VALU_DEP_1) | instskip(NEXT) | instid1(VALU_DEP_1)
	v_fma_f64 v[126:127], v[130:131], v[126:127], v[128:129]
	v_ldexp_f64 v[126:127], v[126:127], v27
	s_delay_alu instid0(VALU_DEP_1) | instskip(NEXT) | instid1(VALU_DEP_1)
	v_dual_cndmask_b32 v124, v126, v124 :: v_dual_cndmask_b32 v125, v127, v125
	v_div_scale_f64 v[126:127], null, v[124:125], v[124:125], v[120:121]
	s_delay_alu instid0(VALU_DEP_1) | instskip(SKIP_2) | instid1(VALU_DEP_1)
	v_rcp_f64_e32 v[128:129], v[126:127]
	s_waitcnt_depctr 0xfff
	v_fma_f64 v[130:131], -v[126:127], v[128:129], 1.0
	v_fma_f64 v[128:129], v[128:129], v[130:131], v[128:129]
	s_delay_alu instid0(VALU_DEP_1) | instskip(NEXT) | instid1(VALU_DEP_1)
	v_fma_f64 v[130:131], -v[126:127], v[128:129], 1.0
	v_fma_f64 v[128:129], v[128:129], v[130:131], v[128:129]
	v_div_scale_f64 v[130:131], vcc_lo, v[120:121], v[124:125], v[120:121]
	s_delay_alu instid0(VALU_DEP_1) | instskip(NEXT) | instid1(VALU_DEP_1)
	v_mul_f64 v[132:133], v[130:131], v[128:129]
	v_fma_f64 v[126:127], -v[126:127], v[132:133], v[130:131]
	s_delay_alu instid0(VALU_DEP_1) | instskip(NEXT) | instid1(VALU_DEP_1)
	v_div_fmas_f64 v[126:127], v[126:127], v[128:129], v[132:133]
	v_div_fixup_f64 v[124:125], v[126:127], v[124:125], v[120:121]
	v_mul_f64 v[120:121], v[52:53], s[62:63]
	s_delay_alu instid0(VALU_DEP_1)
	v_cmpx_le_f64_e32 0, v[120:121]
	s_xor_b32 s1, exec_lo, s1
	s_cbranch_execz .LBB1_138
; %bb.135:                              ;   in Loop: Header=BB1_93 Depth=3
	s_mov_b32 s33, exec_lo
	s_delay_alu instid0(VALU_DEP_3)
	v_cmpx_gt_f64_e32 v[124:125], v[120:121]
	s_xor_b32 s33, exec_lo, s33
; %bb.136:                              ;   in Loop: Header=BB1_93 Depth=3
	v_dual_mov_b32 v120, v124 :: v_dual_mov_b32 v121, v125
; %bb.137:                              ;   in Loop: Header=BB1_93 Depth=3
	s_or_b32 exec_lo, exec_lo, s33
                                        ; implicit-def: $vgpr124_vgpr125
.LBB1_138:                              ;   in Loop: Header=BB1_93 Depth=3
	s_and_not1_saveexec_b32 s1, s1
	s_cbranch_execz .LBB1_91
; %bb.139:                              ;   in Loop: Header=BB1_93 Depth=3
	s_mov_b32 s33, exec_lo
	s_delay_alu instid0(VALU_DEP_3)
	v_cmpx_lt_f64_e32 v[124:125], v[120:121]
	s_xor_b32 s33, exec_lo, s33
	s_cbranch_execz .LBB1_90
; %bb.140:                              ;   in Loop: Header=BB1_93 Depth=3
	v_dual_mov_b32 v120, v124 :: v_dual_mov_b32 v121, v125
	s_branch .LBB1_90
.LBB1_141:                              ;   in Loop: Header=BB1_81 Depth=2
	s_or_b32 exec_lo, exec_lo, s4
	s_mov_b32 s0, 0xa34ca0c3
	s_mov_b32 s1, 0x3f28c5c9
                                        ; implicit-def: $vgpr46_vgpr47
	s_delay_alu instid0(SALU_CYCLE_1) | instskip(SKIP_1) | instid1(SALU_CYCLE_1)
	v_cmp_nlt_f64_e32 vcc_lo, s[0:1], v[118:119]
	s_and_saveexec_b32 s0, vcc_lo
	s_xor_b32 s0, exec_lo, s0
; %bb.142:                              ;   in Loop: Header=BB1_81 Depth=2
	v_mul_f64 v[46:47], 0x40140000, v[52:53]
; %bb.143:                              ;   in Loop: Header=BB1_81 Depth=2
	s_and_not1_saveexec_b32 s33, s0
	s_cbranch_execz .LBB1_145
; %bb.144:                              ;   in Loop: Header=BB1_81 Depth=2
	v_frexp_mant_f64_e32 v[46:47], v[118:119]
	v_readlane_b32 s24, v184, 14
	v_readlane_b32 s25, v184, 15
	s_mov_b32 s24, s60
	s_mov_b32 s0, 0x4222de17
	;; [unrolled: 1-line block ×10, first 2 shown]
	s_delay_alu instid0(SALU_CYCLE_1) | instskip(NEXT) | instid1(VALU_DEP_4)
	v_mul_f64 v[52:53], v[52:53], s[68:69]
	v_cmp_gt_f64_e32 vcc_lo, s[24:25], v[46:47]
	v_cndmask_b32_e64 v27, 0x3ff00000, 2.0, vcc_lo
	s_delay_alu instid0(VALU_DEP_1) | instskip(SKIP_1) | instid1(VALU_DEP_2)
	v_mul_f64 v[46:47], v[46:47], v[26:27]
	v_frexp_exp_i32_f64_e32 v27, v[118:119]
	v_add_f64 v[54:55], v[46:47], 1.0
	v_add_f64 v[60:61], v[46:47], -1.0
	s_delay_alu instid0(VALU_DEP_3) | instskip(SKIP_1) | instid1(VALU_DEP_4)
	v_subrev_co_ci_u32_e32 v27, vcc_lo, 0, v27, vcc_lo
	v_cmp_eq_f64_e32 vcc_lo, 1.0, v[118:119]
	v_rcp_f64_e32 v[56:57], v[54:55]
	s_waitcnt_depctr 0xfff
	v_fma_f64 v[58:59], -v[54:55], v[56:57], 1.0
	s_delay_alu instid0(VALU_DEP_1) | instskip(NEXT) | instid1(VALU_DEP_1)
	v_fma_f64 v[56:57], v[58:59], v[56:57], v[56:57]
	v_fma_f64 v[58:59], -v[54:55], v[56:57], 1.0
	s_delay_alu instid0(VALU_DEP_1) | instskip(SKIP_1) | instid1(VALU_DEP_2)
	v_fma_f64 v[56:57], v[58:59], v[56:57], v[56:57]
	v_add_f64 v[58:59], v[54:55], -1.0
	v_mul_f64 v[62:63], v[60:61], v[56:57]
	s_delay_alu instid0(VALU_DEP_2) | instskip(NEXT) | instid1(VALU_DEP_2)
	v_add_f64 v[46:47], v[46:47], -v[58:59]
	v_mul_f64 v[58:59], v[54:55], v[62:63]
	s_delay_alu instid0(VALU_DEP_1) | instskip(NEXT) | instid1(VALU_DEP_1)
	v_fma_f64 v[54:55], v[62:63], v[54:55], -v[58:59]
	v_fma_f64 v[46:47], v[62:63], v[46:47], v[54:55]
	s_delay_alu instid0(VALU_DEP_1) | instskip(NEXT) | instid1(VALU_DEP_1)
	v_add_f64 v[54:55], v[58:59], v[46:47]
	v_add_f64 v[58:59], v[54:55], -v[58:59]
	s_delay_alu instid0(VALU_DEP_1) | instskip(SKIP_1) | instid1(VALU_DEP_1)
	v_add_f64 v[46:47], v[58:59], -v[46:47]
	v_add_f64 v[58:59], v[60:61], -v[54:55]
	;; [unrolled: 1-line block ×3, first 2 shown]
	s_delay_alu instid0(VALU_DEP_1) | instskip(NEXT) | instid1(VALU_DEP_1)
	v_add_f64 v[54:55], v[60:61], -v[54:55]
	v_add_f64 v[46:47], v[46:47], v[54:55]
	s_delay_alu instid0(VALU_DEP_1) | instskip(NEXT) | instid1(VALU_DEP_1)
	v_add_f64 v[46:47], v[58:59], v[46:47]
	v_mul_f64 v[46:47], v[56:57], v[46:47]
	s_delay_alu instid0(VALU_DEP_1) | instskip(NEXT) | instid1(VALU_DEP_1)
	v_add_f64 v[54:55], v[62:63], v[46:47]
	v_add_f64 v[56:57], v[54:55], -v[62:63]
	v_mul_f64 v[58:59], v[54:55], v[54:55]
	s_delay_alu instid0(VALU_DEP_2) | instskip(NEXT) | instid1(VALU_DEP_2)
	v_add_f64 v[46:47], v[46:47], -v[56:57]
	v_fma_f64 v[56:57], v[54:55], v[54:55], -v[58:59]
	s_delay_alu instid0(VALU_DEP_2) | instskip(NEXT) | instid1(VALU_DEP_1)
	v_add_f64 v[60:61], v[46:47], v[46:47]
	v_fma_f64 v[56:57], v[54:55], v[60:61], v[56:57]
	s_delay_alu instid0(VALU_DEP_1) | instskip(NEXT) | instid1(VALU_DEP_1)
	v_add_f64 v[60:61], v[58:59], v[56:57]
	v_fma_f64 v[62:63], v[60:61], s[0:1], s[86:87]
	s_mov_b32 s0, 0x3abe935a
	s_mov_b32 s1, 0x3fbe25e4
	v_add_f64 v[58:59], v[60:61], -v[58:59]
	s_mov_b32 s87, s25
	s_delay_alu instid0(VALU_DEP_2) | instskip(SKIP_2) | instid1(VALU_DEP_2)
	v_fma_f64 v[62:63], v[60:61], v[62:63], s[0:1]
	s_mov_b32 s0, 0x47e6c9c2
	s_mov_b32 s1, 0x3fc110ef
	v_add_f64 v[56:57], v[56:57], -v[58:59]
	s_delay_alu instid0(VALU_DEP_2)
	v_fma_f64 v[62:63], v[60:61], v[62:63], s[0:1]
	s_mov_b32 s0, 0xcfa74449
	s_mov_b32 s1, 0x3fc3b13b
	s_delay_alu instid0(VALU_DEP_1) | instid1(SALU_CYCLE_1)
	v_fma_f64 v[62:63], v[60:61], v[62:63], s[0:1]
	s_mov_b32 s0, 0x71bf3c30
	s_mov_b32 s1, 0x3fc745d1
	s_delay_alu instid0(VALU_DEP_1) | instid1(SALU_CYCLE_1)
	;; [unrolled: 4-line block ×5, first 2 shown]
	v_fma_f64 v[62:63], v[60:61], v[62:63], s[0:1]
	v_readlane_b32 s0, v184, 6
	v_readlane_b32 s1, v184, 7
	s_mov_b32 s0, s60
	v_writelane_b32 v184, s86, 14
	v_writelane_b32 v184, s87, 15
	s_delay_alu instid0(VALU_DEP_3)
	s_mov_b32 s87, s1
	v_writelane_b32 v184, s86, 6
	v_writelane_b32 v184, s87, 7
	s_mov_b32 s86, 0x3b39803f
	s_mov_b32 s87, 0x3c7abc9e
	;; [unrolled: 1-line block ×3, first 2 shown]
	v_mul_f64 v[58:59], v[60:61], v[62:63]
	s_delay_alu instid0(VALU_DEP_1) | instskip(NEXT) | instid1(VALU_DEP_1)
	v_fma_f64 v[64:65], v[60:61], v[62:63], -v[58:59]
	v_fma_f64 v[62:63], v[56:57], v[62:63], v[64:65]
	v_mul_f64 v[64:65], v[54:55], v[60:61]
	s_delay_alu instid0(VALU_DEP_1) | instskip(NEXT) | instid1(VALU_DEP_1)
	v_fma_f64 v[66:67], v[60:61], v[54:55], -v[64:65]
	v_fma_f64 v[60:61], v[60:61], v[46:47], v[66:67]
	s_delay_alu instid0(VALU_DEP_4) | instskip(SKIP_1) | instid1(VALU_DEP_3)
	v_add_f64 v[66:67], v[58:59], v[62:63]
	v_ldexp_f64 v[46:47], v[46:47], 1
	v_fma_f64 v[56:57], v[56:57], v[54:55], v[60:61]
	s_delay_alu instid0(VALU_DEP_3) | instskip(SKIP_1) | instid1(VALU_DEP_2)
	v_add_f64 v[58:59], v[66:67], -v[58:59]
	v_ldexp_f64 v[54:55], v[54:55], 1
	v_add_f64 v[58:59], v[62:63], -v[58:59]
	v_add_f64 v[62:63], v[66:67], s[24:25]
	v_readlane_b32 s24, v184, 8
	v_readlane_b32 s25, v184, 9
	s_delay_alu instid0(VALU_DEP_3) | instskip(SKIP_2) | instid1(SALU_CYCLE_1)
	v_add_f64 v[68:69], v[62:63], s[0:1]
	s_mov_b32 s0, 0xd5df274d
	s_mov_b32 s1, 0x3c8543b0
	v_add_f64 v[58:59], v[58:59], s[0:1]
	s_mov_b32 s0, 0xfefa39ef
	s_mov_b32 s1, 0x3fe62e42
	s_delay_alu instid0(VALU_DEP_2) | instskip(NEXT) | instid1(VALU_DEP_1)
	v_add_f64 v[66:67], v[66:67], -v[68:69]
	v_add_f64 v[58:59], v[58:59], v[66:67]
	s_delay_alu instid0(VALU_DEP_1) | instskip(NEXT) | instid1(VALU_DEP_1)
	v_add_f64 v[60:61], v[62:63], v[58:59]
	v_add_f64 v[62:63], v[62:63], -v[60:61]
	s_delay_alu instid0(VALU_DEP_1) | instskip(SKIP_1) | instid1(VALU_DEP_1)
	v_add_f64 v[58:59], v[58:59], v[62:63]
	v_add_f64 v[62:63], v[64:65], v[56:57]
	v_mul_f64 v[66:67], v[62:63], v[60:61]
	s_delay_alu instid0(VALU_DEP_1) | instskip(NEXT) | instid1(VALU_DEP_1)
	v_fma_f64 v[68:69], v[62:63], v[60:61], -v[66:67]
	v_fma_f64 v[58:59], v[62:63], v[58:59], v[68:69]
	v_add_f64 v[62:63], v[62:63], -v[64:65]
	s_delay_alu instid0(VALU_DEP_1) | instskip(NEXT) | instid1(VALU_DEP_1)
	v_add_f64 v[56:57], v[56:57], -v[62:63]
	v_fma_f64 v[56:57], v[56:57], v[60:61], v[58:59]
	v_cvt_f64_i32_e32 v[58:59], v27
	s_delay_alu instid0(VALU_DEP_1) | instskip(NEXT) | instid1(VALU_DEP_1)
	v_mul_f64 v[60:61], v[58:59], s[0:1]
	v_fma_f64 v[62:63], v[58:59], s[0:1], -v[60:61]
	s_mov_b32 s1, s25
	v_writelane_b32 v184, s24, 8
	v_writelane_b32 v184, s25, 9
	s_mov_b32 s24, 0x6a5dcb37
	s_mov_b32 s25, 0x3e5ade15
	s_delay_alu instid0(VALU_DEP_3) | instskip(SKIP_2) | instid1(VALU_DEP_1)
	v_fma_f64 v[58:59], v[58:59], s[86:87], v[62:63]
	v_add_f64 v[62:63], v[66:67], v[56:57]
	s_mov_b64 s[86:87], s[4:5]
	v_add_f64 v[64:65], v[62:63], -v[66:67]
	s_delay_alu instid0(VALU_DEP_1) | instskip(SKIP_1) | instid1(VALU_DEP_2)
	v_add_f64 v[56:57], v[56:57], -v[64:65]
	v_add_f64 v[64:65], v[54:55], v[62:63]
	v_add_f64 v[46:47], v[46:47], v[56:57]
	s_delay_alu instid0(VALU_DEP_2) | instskip(SKIP_1) | instid1(VALU_DEP_2)
	v_add_f64 v[54:55], v[64:65], -v[54:55]
	v_add_f64 v[56:57], v[60:61], v[58:59]
	v_add_f64 v[54:55], v[62:63], -v[54:55]
	s_delay_alu instid0(VALU_DEP_1) | instskip(NEXT) | instid1(VALU_DEP_3)
	v_add_f64 v[46:47], v[46:47], v[54:55]
	v_add_f64 v[54:55], v[56:57], -v[60:61]
	s_delay_alu instid0(VALU_DEP_2) | instskip(NEXT) | instid1(VALU_DEP_2)
	v_add_f64 v[60:61], v[64:65], v[46:47]
	v_add_f64 v[54:55], v[58:59], -v[54:55]
	s_delay_alu instid0(VALU_DEP_2) | instskip(SKIP_1) | instid1(VALU_DEP_2)
	v_add_f64 v[58:59], v[60:61], -v[64:65]
	v_add_f64 v[62:63], v[56:57], v[60:61]
	v_add_f64 v[46:47], v[46:47], -v[58:59]
	s_delay_alu instid0(VALU_DEP_2) | instskip(NEXT) | instid1(VALU_DEP_1)
	v_add_f64 v[58:59], v[62:63], -v[56:57]
	v_add_f64 v[60:61], v[60:61], -v[58:59]
	;; [unrolled: 1-line block ×3, first 2 shown]
	s_delay_alu instid0(VALU_DEP_1) | instskip(SKIP_1) | instid1(VALU_DEP_2)
	v_add_f64 v[56:57], v[56:57], -v[58:59]
	v_add_f64 v[58:59], v[54:55], v[46:47]
	v_add_f64 v[56:57], v[60:61], v[56:57]
	s_delay_alu instid0(VALU_DEP_2) | instskip(NEXT) | instid1(VALU_DEP_2)
	v_add_f64 v[60:61], v[58:59], -v[54:55]
	v_add_f64 v[56:57], v[58:59], v[56:57]
	s_delay_alu instid0(VALU_DEP_2) | instskip(SKIP_1) | instid1(VALU_DEP_3)
	v_add_f64 v[46:47], v[46:47], -v[60:61]
	v_add_f64 v[58:59], v[58:59], -v[60:61]
	v_add_f64 v[60:61], v[62:63], v[56:57]
	s_delay_alu instid0(VALU_DEP_2) | instskip(NEXT) | instid1(VALU_DEP_2)
	v_add_f64 v[54:55], v[54:55], -v[58:59]
	v_add_f64 v[58:59], v[60:61], -v[62:63]
	s_delay_alu instid0(VALU_DEP_2) | instskip(NEXT) | instid1(VALU_DEP_2)
	v_add_f64 v[46:47], v[46:47], v[54:55]
	v_add_f64 v[54:55], v[56:57], -v[58:59]
	v_cndmask_b32_e32 v57, 0xbfc99999, v25, vcc_lo
	v_cndmask_b32_e64 v56, 0x9999999a, 0, vcc_lo
	s_delay_alu instid0(VALU_DEP_3) | instskip(NEXT) | instid1(VALU_DEP_1)
	v_add_f64 v[46:47], v[46:47], v[54:55]
	v_add_f64 v[54:55], v[60:61], v[46:47]
	s_delay_alu instid0(VALU_DEP_1) | instskip(NEXT) | instid1(VALU_DEP_4)
	v_add_f64 v[58:59], v[54:55], -v[60:61]
	v_mul_f64 v[60:61], v[56:57], v[54:55]
	s_delay_alu instid0(VALU_DEP_2) | instskip(NEXT) | instid1(VALU_DEP_2)
	v_add_f64 v[46:47], v[46:47], -v[58:59]
	v_fma_f64 v[54:55], v[56:57], v[54:55], -v[60:61]
	v_cmp_class_f64_e64 vcc_lo, v[60:61], 0x204
	s_delay_alu instid0(VALU_DEP_2) | instskip(NEXT) | instid1(VALU_DEP_1)
	v_fma_f64 v[46:47], v[56:57], v[46:47], v[54:55]
	v_add_f64 v[54:55], v[60:61], v[46:47]
	s_delay_alu instid0(VALU_DEP_1) | instskip(SKIP_1) | instid1(VALU_DEP_2)
	v_dual_cndmask_b32 v57, v55, v61 :: v_dual_cndmask_b32 v56, v54, v60
	v_add_f64 v[54:55], v[54:55], -v[60:61]
	v_mul_f64 v[58:59], v[56:57], s[88:89]
	v_cmp_lt_f64_e32 vcc_lo, 0x40900000, v[56:57]
	s_delay_alu instid0(VALU_DEP_3) | instskip(NEXT) | instid1(VALU_DEP_3)
	v_add_f64 v[46:47], v[46:47], -v[54:55]
	v_rndne_f64_e32 v[58:59], v[58:59]
	s_delay_alu instid0(VALU_DEP_1) | instskip(SKIP_3) | instid1(VALU_DEP_2)
	v_fma_f64 v[62:63], v[58:59], s[0:1], v[56:57]
	s_mov_b32 s0, 0xfca7ab0c
	s_mov_b32 s1, 0x3e928af3
	v_cvt_i32_f64_e32 v27, v[58:59]
	v_fma_f64 v[62:63], v[58:59], s[86:87], v[62:63]
	s_delay_alu instid0(VALU_DEP_1)
	v_fma_f64 v[64:65], v[62:63], s[24:25], s[0:1]
	s_mov_b32 s0, 0x623fde64
	s_mov_b32 s1, 0x3ec71dee
	s_delay_alu instid0(VALU_DEP_1) | instid1(SALU_CYCLE_1)
	v_fma_f64 v[64:65], v[62:63], v[64:65], s[0:1]
	s_mov_b32 s0, 0x7c89e6b0
	s_mov_b32 s1, 0x3efa0199
	s_delay_alu instid0(VALU_DEP_1) | instid1(SALU_CYCLE_1)
	;; [unrolled: 4-line block ×4, first 2 shown]
	v_fma_f64 v[64:65], v[62:63], v[64:65], s[0:1]
	v_readlane_b32 s0, v184, 10
	v_readlane_b32 s1, v184, 11
	s_mov_b32 s1, s37
	s_delay_alu instid0(VALU_DEP_2) | instskip(NEXT) | instid1(SALU_CYCLE_1)
	s_mov_b32 s4, s0
	v_writelane_b32 v184, s4, 10
	v_writelane_b32 v184, s5, 11
	v_fma_f64 v[64:65], v[62:63], v[64:65], s[0:1]
	s_mov_b32 s0, 11
	s_mov_b32 s1, 0x3fe00000
	s_delay_alu instid0(VALU_DEP_1) | instskip(NEXT) | instid1(VALU_DEP_1)
	v_fma_f64 v[64:65], v[62:63], v[64:65], s[64:65]
	v_fma_f64 v[64:65], v[62:63], v[64:65], s[72:73]
	s_delay_alu instid0(VALU_DEP_1) | instskip(SKIP_2) | instid1(VALU_DEP_3)
	v_fma_f64 v[64:65], v[62:63], v[64:65], s[0:1]
	v_cmp_neq_f64_e64 s0, 0x7ff00000, |v[56:57]|
	v_cmp_ngt_f64_e64 s1, 0xc090cc00, v[56:57]
	v_fma_f64 v[64:65], v[62:63], v[64:65], 1.0
	s_delay_alu instid0(VALU_DEP_3) | instskip(SKIP_1) | instid1(VALU_DEP_3)
	v_cndmask_b32_e64 v47, 0, v47, s0
	v_cndmask_b32_e64 v46, 0, v46, s0
	v_fma_f64 v[58:59], v[62:63], v[64:65], 1.0
	s_delay_alu instid0(VALU_DEP_1) | instskip(NEXT) | instid1(VALU_DEP_1)
	v_ldexp_f64 v[58:59], v[58:59], v27
	v_cndmask_b32_e64 v27, v59, 0x7ff00000, vcc_lo
	s_delay_alu instid0(VALU_DEP_2) | instskip(NEXT) | instid1(VALU_DEP_2)
	v_cndmask_b32_e64 v54, v58, 0, vcc_lo
	v_cndmask_b32_e64 v55, 0, v27, s1
	s_delay_alu instid0(VALU_DEP_2) | instskip(NEXT) | instid1(VALU_DEP_1)
	v_cndmask_b32_e64 v54, 0, v54, s1
	v_fma_f64 v[46:47], v[54:55], v[46:47], v[54:55]
	v_and_b32_e32 v59, 0x7fffffff, v59
	s_delay_alu instid0(VALU_DEP_1) | instskip(NEXT) | instid1(VALU_DEP_1)
	v_cmp_eq_f64_e64 s0, 0x7ff00000, v[58:59]
	s_or_b32 s0, vcc_lo, s0
	s_delay_alu instid0(SALU_CYCLE_1) | instskip(NEXT) | instid1(VALU_DEP_3)
	s_and_b32 vcc_lo, s1, s0
	v_dual_cndmask_b32 v46, v46, v54 :: v_dual_cndmask_b32 v47, v47, v55
	s_delay_alu instid0(VALU_DEP_1)
	v_mul_f64 v[46:47], v[52:53], |v[46:47]|
.LBB1_145:                              ;   in Loop: Header=BB1_81 Depth=2
	s_or_b32 exec_lo, exec_lo, s33
	s_mov_b32 s0, 0x43b990ee
	s_mov_b32 s1, 0x3fb90ee6
	s_mov_b32 s4, -1
	v_fma_f64 v[2:3], v[76:77], s[0:1], v[2:3]
	s_mov_b32 s0, 0x2e2bb280
	s_mov_b32 s1, 0x3fd9c3d0
	s_delay_alu instid0(VALU_DEP_1) | instid1(SALU_CYCLE_1)
	v_fma_f64 v[2:3], v[86:87], s[0:1], v[2:3]
	s_mov_b32 s0, 0x76166929
	s_mov_b32 s1, 0x3fcaef9f
	s_delay_alu instid0(VALU_DEP_1) | instid1(SALU_CYCLE_1)
	;; [unrolled: 4-line block ×3, first 2 shown]
	v_fma_f64 v[2:3], v[122:123], s[0:1], v[2:3]
	v_cmp_nlt_f64_e64 s0, 0, v[48:49]
	s_mov_b32 s1, -1
	s_delay_alu instid0(VALU_DEP_2) | instskip(NEXT) | instid1(VALU_DEP_2)
	v_cmp_nlt_f64_e32 vcc_lo, 0x408f4000, v[2:3]
	s_or_b32 s0, vcc_lo, s0
	v_cmp_nlt_f64_e32 vcc_lo, v[2:3], v[10:11]
	s_and_b32 s33, vcc_lo, s0
	s_delay_alu instid0(SALU_CYCLE_1)
	s_and_saveexec_b32 s0, s33
	s_cbranch_execz .LBB1_80
; %bb.146:                              ;   in Loop: Header=BB1_81 Depth=2
	s_mov_b32 s24, 0x43b990ee
	s_mov_b32 s25, 0x3fb90ee6
	v_cmp_gt_f64_e32 vcc_lo, 0x407f4000, v[2:3]
	v_fma_f64 v[4:5], v[50:51], s[24:25], v[4:5]
	v_fma_f64 v[8:9], v[96:97], s[24:25], v[8:9]
	;; [unrolled: 1-line block ×5, first 2 shown]
	s_mov_b32 s24, 0x2e2bb280
	s_mov_b32 s25, 0x3fd9c3d0
	s_xor_b32 s4, exec_lo, -1
	s_or_not1_b32 s1, vcc_lo, exec_lo
	v_fma_f64 v[4:5], v[80:81], s[24:25], v[4:5]
	v_fma_f64 v[8:9], v[98:99], s[24:25], v[8:9]
	;; [unrolled: 1-line block ×5, first 2 shown]
	s_mov_b32 s24, 0x76166929
	s_mov_b32 s25, 0x3fcaef9f
	s_delay_alu instid0(SALU_CYCLE_1)
	v_fma_f64 v[4:5], v[84:85], s[24:25], v[4:5]
	v_fma_f64 v[8:9], v[102:103], s[24:25], v[8:9]
	;; [unrolled: 1-line block ×5, first 2 shown]
	s_mov_b32 s24, 0x85dab4b0
	s_mov_b32 s25, 0x3fd280a6
	s_delay_alu instid0(SALU_CYCLE_1)
	v_fma_f64 v[4:5], v[108:109], s[24:25], v[4:5]
	v_fma_f64 v[8:9], v[110:111], s[24:25], v[8:9]
	v_fma_f64 v[38:39], v[112:113], s[24:25], v[38:39]
	v_fma_f64 v[14:15], v[114:115], s[24:25], v[14:15]
	v_fma_f64 v[16:17], v[116:117], s[24:25], v[16:17]
	s_branch .LBB1_80
.LBB1_147:                              ;   in Loop: Header=BB1_79 Depth=1
	s_or_b32 exec_lo, exec_lo, s3
	s_mov_b32 s0, -1
                                        ; implicit-def: $vgpr48_vgpr49
	s_and_saveexec_b32 s1, s2
	s_delay_alu instid0(SALU_CYCLE_1)
	s_xor_b32 s33, exec_lo, s1
	s_cbranch_execz .LBB1_78
; %bb.148:                              ;   in Loop: Header=BB1_79 Depth=1
	v_cmp_ngt_f64_e64 s38, 0x41d00000, |v[4:5]|
	v_trig_preop_f64 v[70:71], |v[4:5]|, 0
	v_trig_preop_f64 v[66:67], |v[4:5]|, 1
	v_ldexp_f64 v[72:73], |v[4:5]|, 0xffffff80
	v_trig_preop_f64 v[68:69], |v[4:5]|, 2
	v_and_b32_e32 v84, 0x7fffffff, v5
                                        ; implicit-def: $vgpr86
                                        ; implicit-def: $vgpr48_vgpr49
                                        ; implicit-def: $vgpr50_vgpr51
	s_and_saveexec_b32 s0, s38
	s_delay_alu instid0(SALU_CYCLE_1)
	s_xor_b32 s1, exec_lo, s0
	s_cbranch_execz .LBB1_150
; %bb.149:                              ;   in Loop: Header=BB1_79 Depth=1
	v_cmp_le_f64_e64 vcc_lo, 0x7b000000, |v[4:5]|
	s_mov_b32 s94, s96
	s_mov_b32 s101, s99
	s_delay_alu instid0(VALU_DEP_4) | instskip(SKIP_1) | instid1(VALU_DEP_1)
	v_cndmask_b32_e32 v49, v84, v73, vcc_lo
	v_cndmask_b32_e32 v48, v4, v72, vcc_lo
	v_mul_f64 v[50:51], v[70:71], v[48:49]
	v_mul_f64 v[52:53], v[66:67], v[48:49]
	s_delay_alu instid0(VALU_DEP_2) | instskip(NEXT) | instid1(VALU_DEP_1)
	v_fma_f64 v[54:55], v[70:71], v[48:49], -v[50:51]
	v_add_f64 v[56:57], v[52:53], v[54:55]
	s_delay_alu instid0(VALU_DEP_1) | instskip(NEXT) | instid1(VALU_DEP_1)
	v_add_f64 v[58:59], v[56:57], -v[52:53]
	v_add_f64 v[54:55], v[54:55], -v[58:59]
	;; [unrolled: 1-line block ×3, first 2 shown]
	s_delay_alu instid0(VALU_DEP_1) | instskip(SKIP_1) | instid1(VALU_DEP_2)
	v_add_f64 v[58:59], v[52:53], -v[58:59]
	v_fma_f64 v[52:53], v[66:67], v[48:49], -v[52:53]
	v_add_f64 v[54:55], v[54:55], v[58:59]
	v_mul_f64 v[58:59], v[68:69], v[48:49]
	s_delay_alu instid0(VALU_DEP_1) | instskip(NEXT) | instid1(VALU_DEP_1)
	v_add_f64 v[60:61], v[58:59], v[52:53]
	v_add_f64 v[62:63], v[60:61], -v[58:59]
	s_delay_alu instid0(VALU_DEP_1) | instskip(SKIP_1) | instid1(VALU_DEP_1)
	v_add_f64 v[52:53], v[52:53], -v[62:63]
	v_add_f64 v[62:63], v[60:61], -v[62:63]
	;; [unrolled: 1-line block ×3, first 2 shown]
	s_delay_alu instid0(VALU_DEP_1) | instskip(SKIP_1) | instid1(VALU_DEP_1)
	v_add_f64 v[52:53], v[52:53], v[62:63]
	v_add_f64 v[62:63], v[60:61], v[54:55]
	v_add_f64 v[64:65], v[62:63], -v[60:61]
	s_delay_alu instid0(VALU_DEP_1) | instskip(SKIP_1) | instid1(VALU_DEP_1)
	v_add_f64 v[54:55], v[54:55], -v[64:65]
	v_add_f64 v[64:65], v[62:63], -v[64:65]
	;; [unrolled: 1-line block ×3, first 2 shown]
	v_add_f64 v[64:65], v[50:51], v[56:57]
	s_delay_alu instid0(VALU_DEP_2) | instskip(NEXT) | instid1(VALU_DEP_2)
	v_add_f64 v[54:55], v[54:55], v[60:61]
	v_add_f64 v[50:51], v[64:65], -v[50:51]
	v_ldexp_f64 v[64:65], v[64:65], -2
	s_delay_alu instid0(VALU_DEP_3) | instskip(NEXT) | instid1(VALU_DEP_3)
	v_add_f64 v[52:53], v[52:53], v[54:55]
	v_add_f64 v[50:51], v[56:57], -v[50:51]
	s_delay_alu instid0(VALU_DEP_3) | instskip(SKIP_1) | instid1(VALU_DEP_3)
	v_fract_f64_e32 v[74:75], v[64:65]
	v_cmp_neq_f64_e64 vcc_lo, 0x7ff00000, |v[64:65]|
	v_add_f64 v[54:55], v[50:51], v[62:63]
	s_delay_alu instid0(VALU_DEP_3) | instskip(SKIP_1) | instid1(VALU_DEP_3)
	v_dual_cndmask_b32 v57, 0, v75 :: v_dual_cndmask_b32 v56, 0, v74
	v_fma_f64 v[48:49], v[68:69], v[48:49], -v[58:59]
	v_add_f64 v[50:51], v[54:55], -v[50:51]
	s_delay_alu instid0(VALU_DEP_2) | instskip(NEXT) | instid1(VALU_DEP_4)
	v_add_f64 v[48:49], v[48:49], v[52:53]
	v_ldexp_f64 v[52:53], v[56:57], 2
	s_delay_alu instid0(VALU_DEP_3) | instskip(NEXT) | instid1(VALU_DEP_2)
	v_add_f64 v[50:51], v[62:63], -v[50:51]
	v_add_f64 v[56:57], v[54:55], v[52:53]
	s_delay_alu instid0(VALU_DEP_2) | instskip(NEXT) | instid1(VALU_DEP_2)
	v_add_f64 v[48:49], v[50:51], v[48:49]
	v_cmp_gt_f64_e32 vcc_lo, 0, v[56:57]
	v_cndmask_b32_e64 v27, 0, 0x40100000, vcc_lo
	s_delay_alu instid0(VALU_DEP_1) | instskip(NEXT) | instid1(VALU_DEP_1)
	v_add_f64 v[52:53], v[52:53], v[26:27]
	v_add_f64 v[56:57], v[54:55], v[52:53]
	s_delay_alu instid0(VALU_DEP_1) | instskip(NEXT) | instid1(VALU_DEP_1)
	v_cvt_i32_f64_e32 v27, v[56:57]
	v_cvt_f64_i32_e32 v[56:57], v27
	s_delay_alu instid0(VALU_DEP_1) | instskip(NEXT) | instid1(VALU_DEP_1)
	v_add_f64 v[52:53], v[52:53], -v[56:57]
	v_add_f64 v[50:51], v[54:55], v[52:53]
	s_delay_alu instid0(VALU_DEP_1) | instskip(SKIP_1) | instid1(VALU_DEP_2)
	v_add_f64 v[52:53], v[50:51], -v[52:53]
	v_cmp_le_f64_e32 vcc_lo, 0.5, v[50:51]
	v_add_f64 v[52:53], v[54:55], -v[52:53]
	v_add_co_ci_u32_e64 v86, s0, 0, v27, vcc_lo
	v_cndmask_b32_e64 v27, 0, 0x3ff00000, vcc_lo
	s_delay_alu instid0(VALU_DEP_1) | instskip(NEXT) | instid1(VALU_DEP_4)
	v_add_f64 v[50:51], v[50:51], -v[26:27]
	v_add_f64 v[48:49], v[48:49], v[52:53]
	s_delay_alu instid0(VALU_DEP_1) | instskip(NEXT) | instid1(VALU_DEP_1)
	v_add_f64 v[52:53], v[50:51], v[48:49]
	v_add_f64 v[50:51], v[52:53], -v[50:51]
	s_delay_alu instid0(VALU_DEP_1) | instskip(SKIP_1) | instid1(VALU_DEP_1)
	v_add_f64 v[48:49], v[48:49], -v[50:51]
	v_mul_f64 v[50:51], v[52:53], s[94:95]
	v_fma_f64 v[54:55], v[52:53], s[94:95], -v[50:51]
	s_delay_alu instid0(VALU_DEP_1) | instskip(NEXT) | instid1(VALU_DEP_1)
	v_fma_f64 v[52:53], v[52:53], s[100:101], v[54:55]
	v_fma_f64 v[52:53], v[48:49], s[94:95], v[52:53]
	s_delay_alu instid0(VALU_DEP_1) | instskip(NEXT) | instid1(VALU_DEP_1)
	v_add_f64 v[48:49], v[50:51], v[52:53]
	v_add_f64 v[50:51], v[48:49], -v[50:51]
	s_delay_alu instid0(VALU_DEP_1)
	v_add_f64 v[50:51], v[52:53], -v[50:51]
	s_and_not1_saveexec_b32 s0, s1
	s_cbranch_execz .LBB1_152
	s_branch .LBB1_151
.LBB1_150:                              ;   in Loop: Header=BB1_79 Depth=1
	s_and_not1_saveexec_b32 s0, s1
	s_cbranch_execz .LBB1_152
.LBB1_151:                              ;   in Loop: Header=BB1_79 Depth=1
	v_mul_f64 v[48:49], |v[4:5]|, s[102:103]
	s_mov_b32 s98, s10
	s_delay_alu instid0(VALU_DEP_1) | instskip(NEXT) | instid1(VALU_DEP_1)
	v_rndne_f64_e32 v[52:53], v[48:49]
	v_fma_f64 v[48:49], v[52:53], s[96:97], |v[4:5]|
	v_mul_f64 v[50:51], v[52:53], s[10:11]
	v_cvt_i32_f64_e32 v86, v[52:53]
	s_delay_alu instid0(VALU_DEP_3) | instskip(NEXT) | instid1(VALU_DEP_3)
	v_fma_f64 v[56:57], v[52:53], s[10:11], v[48:49]
	v_add_f64 v[54:55], v[48:49], v[50:51]
	s_delay_alu instid0(VALU_DEP_1) | instskip(NEXT) | instid1(VALU_DEP_3)
	v_add_f64 v[48:49], v[48:49], -v[54:55]
	v_add_f64 v[54:55], v[54:55], -v[56:57]
	s_delay_alu instid0(VALU_DEP_2) | instskip(SKIP_1) | instid1(VALU_DEP_2)
	v_add_f64 v[48:49], v[48:49], v[50:51]
	v_fma_f64 v[50:51], v[52:53], s[98:99], v[50:51]
	v_add_f64 v[48:49], v[54:55], v[48:49]
	s_delay_alu instid0(VALU_DEP_1) | instskip(NEXT) | instid1(VALU_DEP_1)
	v_add_f64 v[48:49], v[48:49], -v[50:51]
	v_fma_f64 v[50:51], v[52:53], s[6:7], v[48:49]
	s_delay_alu instid0(VALU_DEP_1) | instskip(NEXT) | instid1(VALU_DEP_1)
	v_add_f64 v[48:49], v[56:57], v[50:51]
	v_add_f64 v[54:55], v[48:49], -v[56:57]
	s_delay_alu instid0(VALU_DEP_1)
	v_add_f64 v[50:51], v[50:51], -v[54:55]
.LBB1_152:                              ;   in Loop: Header=BB1_79 Depth=1
	s_or_b32 exec_lo, exec_lo, s0
                                        ; implicit-def: $vgpr87
                                        ; implicit-def: $vgpr58_vgpr59
                                        ; implicit-def: $vgpr60_vgpr61
	s_and_saveexec_b32 s0, s38
	s_delay_alu instid0(SALU_CYCLE_1)
	s_xor_b32 s1, exec_lo, s0
	s_cbranch_execz .LBB1_154
; %bb.153:                              ;   in Loop: Header=BB1_79 Depth=1
	v_cmp_le_f64_e64 vcc_lo, 0x7b000000, |v[4:5]|
	s_mov_b32 s94, s96
	s_mov_b32 s101, s99
	s_delay_alu instid0(VALU_DEP_4) | instskip(SKIP_1) | instid1(VALU_DEP_1)
	v_cndmask_b32_e32 v53, v84, v73, vcc_lo
	v_cndmask_b32_e32 v52, v4, v72, vcc_lo
	v_mul_f64 v[54:55], v[70:71], v[52:53]
	v_mul_f64 v[56:57], v[66:67], v[52:53]
	s_delay_alu instid0(VALU_DEP_2) | instskip(NEXT) | instid1(VALU_DEP_1)
	v_fma_f64 v[58:59], v[70:71], v[52:53], -v[54:55]
	v_add_f64 v[60:61], v[56:57], v[58:59]
	s_delay_alu instid0(VALU_DEP_1) | instskip(NEXT) | instid1(VALU_DEP_1)
	v_add_f64 v[62:63], v[60:61], -v[56:57]
	v_add_f64 v[58:59], v[58:59], -v[62:63]
	;; [unrolled: 1-line block ×3, first 2 shown]
	s_delay_alu instid0(VALU_DEP_1) | instskip(SKIP_1) | instid1(VALU_DEP_2)
	v_add_f64 v[62:63], v[56:57], -v[62:63]
	v_fma_f64 v[56:57], v[66:67], v[52:53], -v[56:57]
	v_add_f64 v[58:59], v[58:59], v[62:63]
	v_mul_f64 v[62:63], v[68:69], v[52:53]
	s_delay_alu instid0(VALU_DEP_1) | instskip(NEXT) | instid1(VALU_DEP_1)
	v_add_f64 v[64:65], v[62:63], v[56:57]
	v_add_f64 v[74:75], v[64:65], -v[62:63]
	s_delay_alu instid0(VALU_DEP_1) | instskip(SKIP_1) | instid1(VALU_DEP_1)
	v_add_f64 v[56:57], v[56:57], -v[74:75]
	v_add_f64 v[74:75], v[64:65], -v[74:75]
	;; [unrolled: 1-line block ×3, first 2 shown]
	s_delay_alu instid0(VALU_DEP_1) | instskip(SKIP_1) | instid1(VALU_DEP_1)
	v_add_f64 v[56:57], v[56:57], v[74:75]
	v_add_f64 v[74:75], v[64:65], v[58:59]
	v_add_f64 v[76:77], v[74:75], -v[64:65]
	s_delay_alu instid0(VALU_DEP_1) | instskip(SKIP_1) | instid1(VALU_DEP_1)
	v_add_f64 v[58:59], v[58:59], -v[76:77]
	v_add_f64 v[76:77], v[74:75], -v[76:77]
	;; [unrolled: 1-line block ×3, first 2 shown]
	v_add_f64 v[76:77], v[54:55], v[60:61]
	s_delay_alu instid0(VALU_DEP_2) | instskip(NEXT) | instid1(VALU_DEP_2)
	v_add_f64 v[58:59], v[58:59], v[64:65]
	v_add_f64 v[54:55], v[76:77], -v[54:55]
	v_ldexp_f64 v[76:77], v[76:77], -2
	s_delay_alu instid0(VALU_DEP_3) | instskip(NEXT) | instid1(VALU_DEP_3)
	v_add_f64 v[56:57], v[56:57], v[58:59]
	v_add_f64 v[54:55], v[60:61], -v[54:55]
	s_delay_alu instid0(VALU_DEP_3) | instskip(SKIP_1) | instid1(VALU_DEP_3)
	v_fract_f64_e32 v[78:79], v[76:77]
	v_cmp_neq_f64_e64 vcc_lo, 0x7ff00000, |v[76:77]|
	v_add_f64 v[58:59], v[54:55], v[74:75]
	s_delay_alu instid0(VALU_DEP_3) | instskip(SKIP_1) | instid1(VALU_DEP_3)
	v_dual_cndmask_b32 v61, 0, v79 :: v_dual_cndmask_b32 v60, 0, v78
	v_fma_f64 v[52:53], v[68:69], v[52:53], -v[62:63]
	v_add_f64 v[54:55], v[58:59], -v[54:55]
	s_delay_alu instid0(VALU_DEP_2) | instskip(NEXT) | instid1(VALU_DEP_4)
	v_add_f64 v[52:53], v[52:53], v[56:57]
	v_ldexp_f64 v[56:57], v[60:61], 2
	s_delay_alu instid0(VALU_DEP_3) | instskip(NEXT) | instid1(VALU_DEP_2)
	v_add_f64 v[54:55], v[74:75], -v[54:55]
	v_add_f64 v[60:61], v[58:59], v[56:57]
	s_delay_alu instid0(VALU_DEP_2) | instskip(NEXT) | instid1(VALU_DEP_2)
	v_add_f64 v[52:53], v[54:55], v[52:53]
	v_cmp_gt_f64_e32 vcc_lo, 0, v[60:61]
	v_cndmask_b32_e64 v27, 0, 0x40100000, vcc_lo
	s_delay_alu instid0(VALU_DEP_1) | instskip(NEXT) | instid1(VALU_DEP_1)
	v_add_f64 v[56:57], v[56:57], v[26:27]
	v_add_f64 v[60:61], v[58:59], v[56:57]
	s_delay_alu instid0(VALU_DEP_1) | instskip(NEXT) | instid1(VALU_DEP_1)
	v_cvt_i32_f64_e32 v27, v[60:61]
	v_cvt_f64_i32_e32 v[60:61], v27
	s_delay_alu instid0(VALU_DEP_1) | instskip(NEXT) | instid1(VALU_DEP_1)
	v_add_f64 v[56:57], v[56:57], -v[60:61]
	v_add_f64 v[54:55], v[58:59], v[56:57]
	s_delay_alu instid0(VALU_DEP_1) | instskip(SKIP_1) | instid1(VALU_DEP_2)
	v_add_f64 v[56:57], v[54:55], -v[56:57]
	v_cmp_le_f64_e32 vcc_lo, 0.5, v[54:55]
	v_add_f64 v[56:57], v[58:59], -v[56:57]
	v_add_co_ci_u32_e64 v87, s0, 0, v27, vcc_lo
	v_cndmask_b32_e64 v27, 0, 0x3ff00000, vcc_lo
	s_delay_alu instid0(VALU_DEP_1) | instskip(NEXT) | instid1(VALU_DEP_4)
	v_add_f64 v[54:55], v[54:55], -v[26:27]
	v_add_f64 v[52:53], v[52:53], v[56:57]
	s_delay_alu instid0(VALU_DEP_1) | instskip(NEXT) | instid1(VALU_DEP_1)
	v_add_f64 v[56:57], v[54:55], v[52:53]
	v_add_f64 v[54:55], v[56:57], -v[54:55]
	s_delay_alu instid0(VALU_DEP_1) | instskip(SKIP_1) | instid1(VALU_DEP_1)
	v_add_f64 v[52:53], v[52:53], -v[54:55]
	v_mul_f64 v[54:55], v[56:57], s[94:95]
	v_fma_f64 v[58:59], v[56:57], s[94:95], -v[54:55]
	s_delay_alu instid0(VALU_DEP_1) | instskip(NEXT) | instid1(VALU_DEP_1)
	v_fma_f64 v[56:57], v[56:57], s[100:101], v[58:59]
	v_fma_f64 v[52:53], v[52:53], s[94:95], v[56:57]
	s_delay_alu instid0(VALU_DEP_1) | instskip(NEXT) | instid1(VALU_DEP_1)
	v_add_f64 v[58:59], v[54:55], v[52:53]
	v_add_f64 v[54:55], v[58:59], -v[54:55]
	s_delay_alu instid0(VALU_DEP_1)
	v_add_f64 v[60:61], v[52:53], -v[54:55]
	s_and_not1_saveexec_b32 s0, s1
	s_cbranch_execnz .LBB1_155
	s_branch .LBB1_156
.LBB1_154:                              ;   in Loop: Header=BB1_79 Depth=1
	s_and_not1_saveexec_b32 s0, s1
	s_cbranch_execz .LBB1_156
.LBB1_155:                              ;   in Loop: Header=BB1_79 Depth=1
	v_mul_f64 v[52:53], |v[4:5]|, s[102:103]
	s_mov_b32 s98, s10
	s_delay_alu instid0(VALU_DEP_1) | instskip(NEXT) | instid1(VALU_DEP_1)
	v_rndne_f64_e32 v[52:53], v[52:53]
	v_fma_f64 v[54:55], v[52:53], s[96:97], |v[4:5]|
	v_mul_f64 v[56:57], v[52:53], s[10:11]
	v_cvt_i32_f64_e32 v87, v[52:53]
	s_delay_alu instid0(VALU_DEP_3) | instskip(NEXT) | instid1(VALU_DEP_3)
	v_fma_f64 v[60:61], v[52:53], s[10:11], v[54:55]
	v_add_f64 v[58:59], v[54:55], v[56:57]
	s_delay_alu instid0(VALU_DEP_1) | instskip(NEXT) | instid1(VALU_DEP_3)
	v_add_f64 v[54:55], v[54:55], -v[58:59]
	v_add_f64 v[58:59], v[58:59], -v[60:61]
	s_delay_alu instid0(VALU_DEP_2) | instskip(SKIP_1) | instid1(VALU_DEP_2)
	v_add_f64 v[54:55], v[54:55], v[56:57]
	v_fma_f64 v[56:57], v[52:53], s[98:99], v[56:57]
	v_add_f64 v[54:55], v[58:59], v[54:55]
	s_delay_alu instid0(VALU_DEP_1) | instskip(NEXT) | instid1(VALU_DEP_1)
	v_add_f64 v[54:55], v[54:55], -v[56:57]
	v_fma_f64 v[54:55], v[52:53], s[6:7], v[54:55]
	s_delay_alu instid0(VALU_DEP_1) | instskip(NEXT) | instid1(VALU_DEP_1)
	v_add_f64 v[58:59], v[60:61], v[54:55]
	v_add_f64 v[56:57], v[58:59], -v[60:61]
	s_delay_alu instid0(VALU_DEP_1)
	v_add_f64 v[60:61], v[54:55], -v[56:57]
.LBB1_156:                              ;   in Loop: Header=BB1_79 Depth=1
	s_or_b32 exec_lo, exec_lo, s0
	v_add_f64 v[52:53], v[2:3], v[2:3]
	v_mul_f64 v[56:57], v[2:3], v[2:3]
	s_mov_b32 s3, exec_lo
                                        ; implicit-def: $vgpr64_vgpr65
                                        ; implicit-def: $sgpr0_sgpr1
                                        ; implicit-def: $vgpr74_vgpr75
	s_delay_alu instid0(VALU_DEP_2) | instskip(NEXT) | instid1(VALU_DEP_1)
	v_fma_f64 v[54:55], v[2:3], v[2:3], -v[52:53]
	v_add_f64 v[62:63], v[6:7], v[54:55]
	v_cmpx_nlt_f64_e32 v[2:3], v[12:13]
	s_xor_b32 s3, exec_lo, s3
	s_cbranch_execz .LBB1_158
; %bb.157:                              ;   in Loop: Header=BB1_79 Depth=1
	v_cmp_gt_f64_e32 vcc_lo, 0x10000000, v[2:3]
	s_mov_b64 s[0:1], 0
	v_cndmask_b32_e64 v27, 0, 1, vcc_lo
	s_delay_alu instid0(VALU_DEP_1) | instskip(NEXT) | instid1(VALU_DEP_1)
	v_lshlrev_b32_e32 v27, 8, v27
	v_ldexp_f64 v[62:63], v[2:3], v27
	v_cndmask_b32_e64 v27, 0, 0xffffff80, vcc_lo
	s_delay_alu instid0(VALU_DEP_2) | instskip(SKIP_4) | instid1(VALU_DEP_1)
	v_rsq_f64_e32 v[64:65], v[62:63]
	v_cmp_class_f64_e64 vcc_lo, v[62:63], 0x260
	s_waitcnt_depctr 0xfff
	v_mul_f64 v[74:75], v[62:63], v[64:65]
	v_mul_f64 v[64:65], v[64:65], 0.5
	v_fma_f64 v[76:77], -v[64:65], v[74:75], 0.5
	s_delay_alu instid0(VALU_DEP_1) | instskip(SKIP_1) | instid1(VALU_DEP_2)
	v_fma_f64 v[74:75], v[74:75], v[76:77], v[74:75]
	v_fma_f64 v[64:65], v[64:65], v[76:77], v[64:65]
	v_fma_f64 v[78:79], -v[74:75], v[74:75], v[62:63]
	s_delay_alu instid0(VALU_DEP_1) | instskip(NEXT) | instid1(VALU_DEP_1)
	v_fma_f64 v[74:75], v[78:79], v[64:65], v[74:75]
	v_fma_f64 v[76:77], -v[74:75], v[74:75], v[62:63]
	s_delay_alu instid0(VALU_DEP_1) | instskip(NEXT) | instid1(VALU_DEP_1)
	v_fma_f64 v[64:65], v[76:77], v[64:65], v[74:75]
	v_ldexp_f64 v[64:65], v[64:65], v27
	s_delay_alu instid0(VALU_DEP_1) | instskip(SKIP_1) | instid1(VALU_DEP_1)
	v_dual_cndmask_b32 v62, v64, v62 :: v_dual_cndmask_b32 v63, v65, v63
	v_fma_f64 v[64:65], 0xc0080000, v[2:3], v[56:57]
	v_fma_f64 v[64:65], v[0:1], v[62:63], v[64:65]
	s_delay_alu instid0(VALU_DEP_1) | instskip(SKIP_1) | instid1(VALU_DEP_1)
	v_cmp_gt_f64_e32 vcc_lo, 0x10000000, v[64:65]
	v_cndmask_b32_e64 v27, 0, 1, vcc_lo
	v_lshlrev_b32_e32 v27, 8, v27
	s_delay_alu instid0(VALU_DEP_1) | instskip(SKIP_1) | instid1(VALU_DEP_2)
	v_ldexp_f64 v[64:65], v[64:65], v27
	v_cndmask_b32_e64 v27, 0, 0xffffff80, vcc_lo
	v_rsq_f64_e32 v[74:75], v[64:65]
	v_cmp_class_f64_e64 vcc_lo, v[64:65], 0x260
	s_waitcnt_depctr 0xfff
	v_mul_f64 v[76:77], v[64:65], v[74:75]
	v_mul_f64 v[74:75], v[74:75], 0.5
	s_delay_alu instid0(VALU_DEP_1) | instskip(NEXT) | instid1(VALU_DEP_1)
	v_fma_f64 v[78:79], -v[74:75], v[76:77], 0.5
	v_fma_f64 v[76:77], v[76:77], v[78:79], v[76:77]
	v_fma_f64 v[74:75], v[74:75], v[78:79], v[74:75]
	s_delay_alu instid0(VALU_DEP_2) | instskip(NEXT) | instid1(VALU_DEP_1)
	v_fma_f64 v[80:81], -v[76:77], v[76:77], v[64:65]
	v_fma_f64 v[76:77], v[80:81], v[74:75], v[76:77]
	s_delay_alu instid0(VALU_DEP_1) | instskip(NEXT) | instid1(VALU_DEP_1)
	v_fma_f64 v[78:79], -v[76:77], v[76:77], v[64:65]
	v_fma_f64 v[74:75], v[78:79], v[74:75], v[76:77]
	s_delay_alu instid0(VALU_DEP_1) | instskip(NEXT) | instid1(VALU_DEP_1)
	v_ldexp_f64 v[74:75], v[74:75], v27
	v_dual_cndmask_b32 v64, v74, v64 :: v_dual_cndmask_b32 v65, v75, v65
	s_delay_alu instid0(VALU_DEP_1) | instskip(SKIP_2) | instid1(VALU_DEP_3)
	v_mul_f64 v[74:75], v[62:63], v[64:65]
	v_fma_f64 v[62:63], s[8:9], v[62:63], v[56:57]
	v_mul_f64 v[64:65], v[2:3], v[64:65]
	v_div_scale_f64 v[76:77], null, v[74:75], v[74:75], 1.0
	s_delay_alu instid0(VALU_DEP_1) | instskip(SKIP_2) | instid1(VALU_DEP_1)
	v_rcp_f64_e32 v[78:79], v[76:77]
	s_waitcnt_depctr 0xfff
	v_fma_f64 v[80:81], -v[76:77], v[78:79], 1.0
	v_fma_f64 v[78:79], v[78:79], v[80:81], v[78:79]
	s_delay_alu instid0(VALU_DEP_1) | instskip(NEXT) | instid1(VALU_DEP_1)
	v_fma_f64 v[80:81], -v[76:77], v[78:79], 1.0
	v_fma_f64 v[78:79], v[78:79], v[80:81], v[78:79]
	v_div_scale_f64 v[80:81], vcc_lo, 1.0, v[74:75], 1.0
	s_delay_alu instid0(VALU_DEP_1) | instskip(NEXT) | instid1(VALU_DEP_1)
	v_mul_f64 v[82:83], v[80:81], v[78:79]
	v_fma_f64 v[76:77], -v[76:77], v[82:83], v[80:81]
	s_delay_alu instid0(VALU_DEP_1) | instskip(NEXT) | instid1(VALU_DEP_1)
	v_div_fmas_f64 v[76:77], v[76:77], v[78:79], v[82:83]
	v_div_fixup_f64 v[74:75], v[76:77], v[74:75], 1.0
	v_div_scale_f64 v[76:77], null, v[64:65], v[64:65], v[62:63]
	s_delay_alu instid0(VALU_DEP_1) | instskip(SKIP_2) | instid1(VALU_DEP_1)
	v_rcp_f64_e32 v[78:79], v[76:77]
	s_waitcnt_depctr 0xfff
	v_fma_f64 v[80:81], -v[76:77], v[78:79], 1.0
	v_fma_f64 v[78:79], v[78:79], v[80:81], v[78:79]
	s_delay_alu instid0(VALU_DEP_1) | instskip(NEXT) | instid1(VALU_DEP_1)
	v_fma_f64 v[80:81], -v[76:77], v[78:79], 1.0
	v_fma_f64 v[78:79], v[78:79], v[80:81], v[78:79]
	v_div_scale_f64 v[80:81], vcc_lo, v[62:63], v[64:65], v[62:63]
	s_delay_alu instid0(VALU_DEP_1) | instskip(NEXT) | instid1(VALU_DEP_1)
	v_mul_f64 v[82:83], v[80:81], v[78:79]
	v_fma_f64 v[76:77], -v[76:77], v[82:83], v[80:81]
	s_delay_alu instid0(VALU_DEP_1) | instskip(NEXT) | instid1(VALU_DEP_1)
	v_div_fmas_f64 v[76:77], v[76:77], v[78:79], v[82:83]
	v_div_fixup_f64 v[64:65], v[76:77], v[64:65], v[62:63]
	v_add_f64 v[62:63], v[6:7], v[54:55]
.LBB1_158:                              ;   in Loop: Header=BB1_79 Depth=1
	s_or_saveexec_b32 s44, s3
	v_dual_mov_b32 v55, s1 :: v_dual_mov_b32 v54, s0
	s_xor_b32 exec_lo, exec_lo, s44
	s_cbranch_execz .LBB1_160
; %bb.159:                              ;   in Loop: Header=BB1_79 Depth=1
	v_add_f64 v[54:55], v[52:53], -v[34:35]
	v_readlane_b32 s2, v184, 14
	v_readlane_b32 s3, v184, 15
	s_mov_b32 s2, s60
	s_mov_b32 s0, 0x4222de17
	s_mov_b32 s5, s87
	s_mov_b32 s86, 0x968915a9
	s_mov_b32 s1, 0x3fbdee67
	s_mov_b32 s87, 0x3fba6564
	s_mov_b32 s65, s61
	s_delay_alu instid0(VALU_DEP_3) | instskip(NEXT) | instid1(VALU_DEP_1)
	v_div_scale_f64 v[64:65], null, v[62:63], v[62:63], v[54:55]
	v_rcp_f64_e32 v[74:75], v[64:65]
	s_waitcnt_depctr 0xfff
	v_fma_f64 v[76:77], -v[64:65], v[74:75], 1.0
	s_delay_alu instid0(VALU_DEP_1) | instskip(NEXT) | instid1(VALU_DEP_1)
	v_fma_f64 v[74:75], v[74:75], v[76:77], v[74:75]
	v_fma_f64 v[76:77], -v[64:65], v[74:75], 1.0
	s_delay_alu instid0(VALU_DEP_1) | instskip(SKIP_1) | instid1(VALU_DEP_1)
	v_fma_f64 v[74:75], v[74:75], v[76:77], v[74:75]
	v_div_scale_f64 v[76:77], vcc_lo, v[54:55], v[62:63], v[54:55]
	v_mul_f64 v[78:79], v[76:77], v[74:75]
	s_delay_alu instid0(VALU_DEP_1) | instskip(NEXT) | instid1(VALU_DEP_1)
	v_fma_f64 v[64:65], -v[64:65], v[78:79], v[76:77]
	v_div_fmas_f64 v[64:65], v[64:65], v[74:75], v[78:79]
	s_delay_alu instid0(VALU_DEP_1) | instskip(SKIP_1) | instid1(VALU_DEP_1)
	v_div_fixup_f64 v[74:75], v[64:65], v[62:63], v[54:55]
	v_div_scale_f64 v[54:55], null, v[2:3], v[2:3], 2.0
	v_rcp_f64_e32 v[64:65], v[54:55]
	s_waitcnt_depctr 0xfff
	v_fma_f64 v[76:77], -v[54:55], v[64:65], 1.0
	s_delay_alu instid0(VALU_DEP_1) | instskip(NEXT) | instid1(VALU_DEP_1)
	v_fma_f64 v[64:65], v[64:65], v[76:77], v[64:65]
	v_fma_f64 v[76:77], -v[54:55], v[64:65], 1.0
	s_delay_alu instid0(VALU_DEP_1) | instskip(SKIP_1) | instid1(VALU_DEP_1)
	v_fma_f64 v[64:65], v[64:65], v[76:77], v[64:65]
	v_div_scale_f64 v[76:77], vcc_lo, 2.0, v[2:3], 2.0
	v_mul_f64 v[78:79], v[76:77], v[64:65]
	s_delay_alu instid0(VALU_DEP_1) | instskip(NEXT) | instid1(VALU_DEP_1)
	v_fma_f64 v[54:55], -v[54:55], v[78:79], v[76:77]
	v_div_fmas_f64 v[54:55], v[54:55], v[64:65], v[78:79]
	v_add_f64 v[64:65], v[74:75], 1.0
	v_fma_f64 v[74:75], s[8:9], v[74:75], v[30:31]
	s_delay_alu instid0(VALU_DEP_3) | instskip(NEXT) | instid1(VALU_DEP_1)
	v_div_fixup_f64 v[54:55], v[54:55], v[2:3], 2.0
	v_fma_f64 v[54:55], v[54:55], v[64:65], 1.0
	s_delay_alu instid0(VALU_DEP_1) | instskip(SKIP_1) | instid1(VALU_DEP_1)
	v_mul_f64 v[64:65], v[32:33], v[54:55]
	v_div_scale_f64 v[54:55], null, v[2:3], v[2:3], v[12:13]
	v_rcp_f64_e32 v[76:77], v[54:55]
	s_waitcnt_depctr 0xfff
	v_fma_f64 v[78:79], -v[54:55], v[76:77], 1.0
	s_delay_alu instid0(VALU_DEP_1) | instskip(NEXT) | instid1(VALU_DEP_1)
	v_fma_f64 v[76:77], v[76:77], v[78:79], v[76:77]
	v_fma_f64 v[78:79], -v[54:55], v[76:77], 1.0
	s_delay_alu instid0(VALU_DEP_1) | instskip(SKIP_1) | instid1(VALU_DEP_1)
	v_fma_f64 v[76:77], v[76:77], v[78:79], v[76:77]
	v_div_scale_f64 v[78:79], vcc_lo, v[12:13], v[2:3], v[12:13]
	v_mul_f64 v[80:81], v[78:79], v[76:77]
	s_delay_alu instid0(VALU_DEP_1) | instskip(SKIP_1) | instid1(VALU_DEP_2)
	v_fma_f64 v[54:55], -v[54:55], v[80:81], v[78:79]
	v_mov_b32_e32 v78, v26
	v_div_fmas_f64 v[54:55], v[54:55], v[76:77], v[80:81]
	s_delay_alu instid0(VALU_DEP_1) | instskip(NEXT) | instid1(VALU_DEP_1)
	v_div_fixup_f64 v[54:55], v[54:55], v[2:3], v[12:13]
	v_add_f64 v[54:55], v[54:55], -1.0
	s_delay_alu instid0(VALU_DEP_1) | instskip(SKIP_3) | instid1(VALU_DEP_3)
	v_cmp_eq_f64_e32 vcc_lo, 1.0, v[54:55]
	v_frexp_mant_f64_e64 v[76:77], |v[54:55]|
	v_frexp_exp_i32_f64_e32 v80, v[54:55]
	v_cndmask_b32_e32 v27, 0x40080000, v25, vcc_lo
	v_cmp_gt_f64_e32 vcc_lo, s[2:3], v[76:77]
	v_cndmask_b32_e64 v79, 0x3ff00000, 2.0, vcc_lo
	s_delay_alu instid0(VALU_DEP_4) | instskip(NEXT) | instid1(VALU_DEP_2)
	v_subrev_co_ci_u32_e32 v85, vcc_lo, 0, v80, vcc_lo
	v_mul_f64 v[76:77], v[76:77], v[78:79]
	s_delay_alu instid0(VALU_DEP_1) | instskip(SKIP_1) | instid1(VALU_DEP_2)
	v_add_f64 v[80:81], v[76:77], 1.0
	v_add_f64 v[78:79], v[76:77], -1.0
	v_add_f64 v[82:83], v[80:81], -1.0
	s_delay_alu instid0(VALU_DEP_1) | instskip(SKIP_3) | instid1(VALU_DEP_1)
	v_add_f64 v[76:77], v[76:77], -v[82:83]
	v_rcp_f64_e32 v[82:83], v[80:81]
	s_waitcnt_depctr 0xfff
	v_fma_f64 v[88:89], -v[80:81], v[82:83], 1.0
	v_fma_f64 v[82:83], v[88:89], v[82:83], v[82:83]
	s_delay_alu instid0(VALU_DEP_1) | instskip(NEXT) | instid1(VALU_DEP_1)
	v_fma_f64 v[88:89], -v[80:81], v[82:83], 1.0
	v_fma_f64 v[82:83], v[88:89], v[82:83], v[82:83]
	s_delay_alu instid0(VALU_DEP_1) | instskip(NEXT) | instid1(VALU_DEP_1)
	v_mul_f64 v[88:89], v[78:79], v[82:83]
	v_mul_f64 v[90:91], v[80:81], v[88:89]
	s_delay_alu instid0(VALU_DEP_1) | instskip(NEXT) | instid1(VALU_DEP_1)
	v_fma_f64 v[80:81], v[88:89], v[80:81], -v[90:91]
	v_fma_f64 v[76:77], v[88:89], v[76:77], v[80:81]
	s_delay_alu instid0(VALU_DEP_1) | instskip(NEXT) | instid1(VALU_DEP_1)
	v_add_f64 v[80:81], v[90:91], v[76:77]
	v_add_f64 v[92:93], v[78:79], -v[80:81]
	v_add_f64 v[90:91], v[80:81], -v[90:91]
	s_delay_alu instid0(VALU_DEP_2) | instskip(NEXT) | instid1(VALU_DEP_2)
	v_add_f64 v[78:79], v[78:79], -v[92:93]
	v_add_f64 v[76:77], v[90:91], -v[76:77]
	v_cvt_f64_i32_e32 v[90:91], v85
	s_delay_alu instid0(VALU_DEP_3) | instskip(NEXT) | instid1(VALU_DEP_1)
	v_add_f64 v[78:79], v[78:79], -v[80:81]
	v_add_f64 v[76:77], v[76:77], v[78:79]
	s_delay_alu instid0(VALU_DEP_1) | instskip(NEXT) | instid1(VALU_DEP_1)
	v_add_f64 v[76:77], v[92:93], v[76:77]
	v_mul_f64 v[76:77], v[82:83], v[76:77]
	s_delay_alu instid0(VALU_DEP_1) | instskip(NEXT) | instid1(VALU_DEP_1)
	v_add_f64 v[78:79], v[88:89], v[76:77]
	v_add_f64 v[80:81], v[78:79], -v[88:89]
	s_delay_alu instid0(VALU_DEP_1) | instskip(SKIP_1) | instid1(VALU_DEP_2)
	v_add_f64 v[76:77], v[76:77], -v[80:81]
	v_mul_f64 v[80:81], v[78:79], v[78:79]
	v_add_f64 v[88:89], v[76:77], v[76:77]
	s_delay_alu instid0(VALU_DEP_2) | instskip(SKIP_1) | instid1(VALU_DEP_2)
	v_fma_f64 v[82:83], v[78:79], v[78:79], -v[80:81]
	v_ldexp_f64 v[96:97], v[76:77], 1
	v_fma_f64 v[82:83], v[78:79], v[88:89], v[82:83]
	s_delay_alu instid0(VALU_DEP_1) | instskip(NEXT) | instid1(VALU_DEP_1)
	v_add_f64 v[88:89], v[80:81], v[82:83]
	v_add_f64 v[80:81], v[88:89], -v[80:81]
	v_mul_f64 v[98:99], v[78:79], v[88:89]
	s_delay_alu instid0(VALU_DEP_2)
	v_add_f64 v[80:81], v[82:83], -v[80:81]
	v_fma_f64 v[82:83], v[88:89], s[0:1], s[86:87]
	s_mov_b32 s0, 0x3abe935a
	s_mov_b32 s1, 0x3fbe25e4
	;; [unrolled: 1-line block ×4, first 2 shown]
	s_delay_alu instid0(VALU_DEP_3) | instskip(SKIP_1) | instid1(VALU_DEP_2)
	v_fma_f64 v[100:101], v[88:89], v[78:79], -v[98:99]
	s_mov_b32 s4, s86
	v_fma_f64 v[82:83], v[88:89], v[82:83], s[0:1]
	s_mov_b32 s0, 0x47e6c9c2
	s_mov_b32 s1, 0x3fc110ef
	s_delay_alu instid0(VALU_DEP_2) | instskip(NEXT) | instid1(VALU_DEP_2)
	v_fma_f64 v[76:77], v[88:89], v[76:77], v[100:101]
	v_fma_f64 v[82:83], v[88:89], v[82:83], s[0:1]
	s_mov_b32 s0, 0xcfa74449
	s_mov_b32 s1, 0x3fc3b13b
	s_delay_alu instid0(VALU_DEP_2) | instskip(NEXT) | instid1(VALU_DEP_2)
	v_fma_f64 v[76:77], v[80:81], v[78:79], v[76:77]
	v_fma_f64 v[82:83], v[88:89], v[82:83], s[0:1]
	s_mov_b32 s0, 0x71bf3c30
	s_mov_b32 s1, 0x3fc745d1
	s_delay_alu instid0(VALU_DEP_1) | instid1(SALU_CYCLE_1)
	v_fma_f64 v[82:83], v[88:89], v[82:83], s[0:1]
	s_mov_b32 s0, 0x1c7792ce
	s_mov_b32 s1, 0x3fcc71c7
	s_delay_alu instid0(VALU_DEP_1) | instid1(SALU_CYCLE_1)
	;; [unrolled: 4-line block ×4, first 2 shown]
	v_fma_f64 v[82:83], v[88:89], v[82:83], s[0:1]
	s_mov_b32 s0, 0xfefa39ef
	s_mov_b32 s1, 0x3fe62e42
	s_delay_alu instid0(SALU_CYCLE_1) | instskip(NEXT) | instid1(VALU_DEP_1)
	v_mul_f64 v[92:93], v[90:91], s[0:1]
	v_fma_f64 v[94:95], v[90:91], s[0:1], -v[92:93]
	s_mov_b32 s1, s3
	v_writelane_b32 v184, s0, 14
	v_writelane_b32 v184, s1, 15
	s_delay_alu instid0(VALU_DEP_3) | instskip(SKIP_1) | instid1(VALU_DEP_1)
	v_fma_f64 v[90:91], v[90:91], s[86:87], v[94:95]
	s_mov_b64 s[86:87], s[4:5]
	v_add_f64 v[94:95], v[92:93], v[90:91]
	s_delay_alu instid0(VALU_DEP_1) | instskip(NEXT) | instid1(VALU_DEP_1)
	v_add_f64 v[92:93], v[94:95], -v[92:93]
	v_add_f64 v[90:91], v[90:91], -v[92:93]
	v_ldexp_f64 v[92:93], v[78:79], 1
	v_add_f64 v[78:79], v[98:99], v[76:77]
	s_delay_alu instid0(VALU_DEP_1) | instskip(NEXT) | instid1(VALU_DEP_1)
	v_add_f64 v[98:99], v[78:79], -v[98:99]
	v_add_f64 v[76:77], v[76:77], -v[98:99]
	v_mul_f64 v[98:99], v[88:89], v[82:83]
	s_delay_alu instid0(VALU_DEP_1) | instskip(NEXT) | instid1(VALU_DEP_1)
	v_fma_f64 v[88:89], v[88:89], v[82:83], -v[98:99]
	v_fma_f64 v[80:81], v[80:81], v[82:83], v[88:89]
	s_delay_alu instid0(VALU_DEP_1) | instskip(NEXT) | instid1(VALU_DEP_1)
	v_add_f64 v[82:83], v[98:99], v[80:81]
	v_add_f64 v[88:89], v[82:83], -v[98:99]
	s_delay_alu instid0(VALU_DEP_1) | instskip(SKIP_4) | instid1(VALU_DEP_1)
	v_add_f64 v[80:81], v[80:81], -v[88:89]
	v_add_f64 v[88:89], v[82:83], s[2:3]
	v_readlane_b32 s2, v184, 6
	v_readlane_b32 s3, v184, 7
	s_mov_b32 s2, s60
	s_mov_b32 s1, s3
	v_writelane_b32 v184, s0, 6
	v_writelane_b32 v184, s1, 7
	v_add_f64 v[98:99], v[88:89], s[2:3]
	s_mov_b32 s2, 0xd5df274d
	s_mov_b32 s3, 0x3c8543b0
	s_delay_alu instid0(SALU_CYCLE_1) | instskip(SKIP_2) | instid1(VALU_DEP_2)
	v_add_f64 v[80:81], v[80:81], s[2:3]
	s_mov_b32 s2, 0x652b82fe
	s_mov_b32 s3, 0x3ff71547
	v_add_f64 v[82:83], v[82:83], -v[98:99]
	s_delay_alu instid0(VALU_DEP_1) | instskip(NEXT) | instid1(VALU_DEP_1)
	v_add_f64 v[80:81], v[80:81], v[82:83]
	v_add_f64 v[82:83], v[88:89], v[80:81]
	s_delay_alu instid0(VALU_DEP_1) | instskip(NEXT) | instid1(VALU_DEP_1)
	v_add_f64 v[88:89], v[88:89], -v[82:83]
	v_add_f64 v[80:81], v[80:81], v[88:89]
	v_mul_f64 v[88:89], v[78:79], v[82:83]
	s_delay_alu instid0(VALU_DEP_1) | instskip(NEXT) | instid1(VALU_DEP_1)
	v_fma_f64 v[98:99], v[78:79], v[82:83], -v[88:89]
	v_fma_f64 v[78:79], v[78:79], v[80:81], v[98:99]
	s_delay_alu instid0(VALU_DEP_1) | instskip(NEXT) | instid1(VALU_DEP_1)
	v_fma_f64 v[76:77], v[76:77], v[82:83], v[78:79]
	v_add_f64 v[78:79], v[88:89], v[76:77]
	s_delay_alu instid0(VALU_DEP_1) | instskip(NEXT) | instid1(VALU_DEP_1)
	v_add_f64 v[80:81], v[78:79], -v[88:89]
	v_add_f64 v[76:77], v[76:77], -v[80:81]
	v_add_f64 v[80:81], v[92:93], v[78:79]
	s_delay_alu instid0(VALU_DEP_2) | instskip(NEXT) | instid1(VALU_DEP_2)
	v_add_f64 v[76:77], v[96:97], v[76:77]
	v_add_f64 v[82:83], v[80:81], -v[92:93]
	s_delay_alu instid0(VALU_DEP_1) | instskip(NEXT) | instid1(VALU_DEP_1)
	v_add_f64 v[78:79], v[78:79], -v[82:83]
	v_add_f64 v[76:77], v[76:77], v[78:79]
	s_delay_alu instid0(VALU_DEP_1) | instskip(NEXT) | instid1(VALU_DEP_1)
	v_add_f64 v[78:79], v[80:81], v[76:77]
	v_add_f64 v[80:81], v[78:79], -v[80:81]
	s_delay_alu instid0(VALU_DEP_1) | instskip(SKIP_1) | instid1(VALU_DEP_1)
	v_add_f64 v[76:77], v[76:77], -v[80:81]
	v_add_f64 v[80:81], v[94:95], v[78:79]
	v_add_f64 v[82:83], v[80:81], -v[94:95]
	s_delay_alu instid0(VALU_DEP_1) | instskip(SKIP_2) | instid1(VALU_DEP_3)
	v_add_f64 v[88:89], v[80:81], -v[82:83]
	v_add_f64 v[78:79], v[78:79], -v[82:83]
	v_add_f64 v[82:83], v[90:91], v[76:77]
	v_add_f64 v[88:89], v[94:95], -v[88:89]
	s_delay_alu instid0(VALU_DEP_1) | instskip(NEXT) | instid1(VALU_DEP_3)
	v_add_f64 v[78:79], v[78:79], v[88:89]
	v_add_f64 v[88:89], v[82:83], -v[90:91]
	s_delay_alu instid0(VALU_DEP_2) | instskip(NEXT) | instid1(VALU_DEP_2)
	v_add_f64 v[78:79], v[82:83], v[78:79]
	v_add_f64 v[92:93], v[82:83], -v[88:89]
	v_add_f64 v[76:77], v[76:77], -v[88:89]
	s_delay_alu instid0(VALU_DEP_3) | instskip(NEXT) | instid1(VALU_DEP_3)
	v_add_f64 v[82:83], v[80:81], v[78:79]
	v_add_f64 v[90:91], v[90:91], -v[92:93]
	s_delay_alu instid0(VALU_DEP_2) | instskip(NEXT) | instid1(VALU_DEP_2)
	v_add_f64 v[80:81], v[82:83], -v[80:81]
	v_add_f64 v[76:77], v[76:77], v[90:91]
	s_delay_alu instid0(VALU_DEP_2) | instskip(NEXT) | instid1(VALU_DEP_1)
	v_add_f64 v[78:79], v[78:79], -v[80:81]
	v_add_f64 v[76:77], v[76:77], v[78:79]
	s_delay_alu instid0(VALU_DEP_1) | instskip(NEXT) | instid1(VALU_DEP_1)
	v_add_f64 v[78:79], v[82:83], v[76:77]
	v_add_f64 v[80:81], v[78:79], -v[82:83]
	s_delay_alu instid0(VALU_DEP_1) | instskip(SKIP_1) | instid1(VALU_DEP_1)
	v_add_f64 v[76:77], v[76:77], -v[80:81]
	v_mul_f64 v[80:81], v[26:27], v[78:79]
	v_fma_f64 v[78:79], v[26:27], v[78:79], -v[80:81]
	v_cmp_class_f64_e64 vcc_lo, v[80:81], 0x204
	s_delay_alu instid0(VALU_DEP_2) | instskip(NEXT) | instid1(VALU_DEP_1)
	v_fma_f64 v[76:77], v[26:27], v[76:77], v[78:79]
	v_add_f64 v[78:79], v[80:81], v[76:77]
	s_delay_alu instid0(VALU_DEP_1) | instskip(SKIP_1) | instid1(VALU_DEP_1)
	v_add_f64 v[82:83], v[78:79], -v[80:81]
	v_dual_cndmask_b32 v79, v79, v81 :: v_dual_cndmask_b32 v78, v78, v80
	v_mul_f64 v[80:81], v[78:79], s[2:3]
	v_readlane_b32 s2, v184, 8
	v_readlane_b32 s3, v184, 9
	v_cmp_neq_f64_e64 vcc_lo, 0x7ff00000, |v[78:79]|
	s_delay_alu instid0(VALU_DEP_2) | instskip(NEXT) | instid1(VALU_DEP_3)
	s_mov_b32 s1, s3
	v_writelane_b32 v184, s2, 8
	v_writelane_b32 v184, s3, 9
	s_mov_b32 s2, 0x6a5dcb37
	s_mov_b32 s3, 0x3e5ade15
	v_add_f64 v[76:77], v[76:77], -v[82:83]
	v_rndne_f64_e32 v[80:81], v[80:81]
	s_delay_alu instid0(VALU_DEP_2) | instskip(SKIP_1) | instid1(VALU_DEP_3)
	v_dual_cndmask_b32 v77, 0, v77 :: v_dual_cndmask_b32 v76, 0, v76
	v_cmp_lt_f64_e32 vcc_lo, 0x40900000, v[78:79]
	v_fma_f64 v[82:83], v[80:81], s[0:1], v[78:79]
	s_mov_b32 s0, 0xfca7ab0c
	s_mov_b32 s1, 0x3e928af3
	s_delay_alu instid0(VALU_DEP_1) | instskip(SKIP_1) | instid1(VALU_DEP_2)
	v_fma_f64 v[82:83], v[80:81], s[86:87], v[82:83]
	v_cvt_i32_f64_e32 v80, v[80:81]
	v_fma_f64 v[88:89], v[82:83], s[2:3], s[0:1]
	s_mov_b32 s0, 0x623fde64
	s_mov_b32 s1, 0x3ec71dee
	s_delay_alu instid0(VALU_DEP_1) | instid1(SALU_CYCLE_1)
	v_fma_f64 v[88:89], v[82:83], v[88:89], s[0:1]
	s_mov_b32 s0, 0x7c89e6b0
	s_mov_b32 s1, 0x3efa0199
	s_delay_alu instid0(VALU_DEP_1) | instid1(SALU_CYCLE_1)
	v_fma_f64 v[88:89], v[82:83], v[88:89], s[0:1]
	s_mov_b32 s0, 0x14761f6e
	s_mov_b32 s1, 0x3f2a01a0
	s_delay_alu instid0(VALU_DEP_1) | instid1(SALU_CYCLE_1)
	v_fma_f64 v[88:89], v[82:83], v[88:89], s[0:1]
	s_mov_b32 s0, 0x1852b7b0
	s_mov_b32 s1, 0x3f56c16c
	s_delay_alu instid0(VALU_DEP_1) | instid1(SALU_CYCLE_1)
	v_fma_f64 v[88:89], v[82:83], v[88:89], s[0:1]
	v_readlane_b32 s0, v184, 10
	v_readlane_b32 s1, v184, 11
	s_mov_b32 s1, s37
	s_delay_alu instid0(VALU_DEP_2) | instskip(NEXT) | instid1(SALU_CYCLE_1)
	s_mov_b32 s2, s0
	v_writelane_b32 v184, s2, 10
	v_writelane_b32 v184, s3, 11
	v_fma_f64 v[88:89], v[82:83], v[88:89], s[0:1]
	s_mov_b32 s0, 11
	s_mov_b32 s1, 0x3fe00000
	s_delay_alu instid0(VALU_DEP_1) | instskip(NEXT) | instid1(VALU_DEP_1)
	v_fma_f64 v[88:89], v[82:83], v[88:89], s[64:65]
	v_fma_f64 v[88:89], v[82:83], v[88:89], s[72:73]
	s_delay_alu instid0(VALU_DEP_1) | instskip(SKIP_1) | instid1(VALU_DEP_2)
	v_fma_f64 v[88:89], v[82:83], v[88:89], s[0:1]
	v_cmp_ngt_f64_e64 s0, 0xc090cc00, v[78:79]
	v_fma_f64 v[88:89], v[82:83], v[88:89], 1.0
	s_delay_alu instid0(VALU_DEP_1) | instskip(NEXT) | instid1(VALU_DEP_1)
	v_fma_f64 v[82:83], v[82:83], v[88:89], 1.0
	v_ldexp_f64 v[80:81], v[82:83], v80
	s_delay_alu instid0(VALU_DEP_1) | instskip(NEXT) | instid1(VALU_DEP_2)
	v_cndmask_b32_e64 v82, v80, 0, vcc_lo
	v_cndmask_b32_e64 v83, v81, 0x7ff00000, vcc_lo
	s_delay_alu instid0(VALU_DEP_2) | instskip(NEXT) | instid1(VALU_DEP_2)
	v_cndmask_b32_e64 v78, 0, v82, s0
	v_cndmask_b32_e64 v79, 0, v83, s0
	s_delay_alu instid0(VALU_DEP_1) | instskip(SKIP_1) | instid1(VALU_DEP_1)
	v_fma_f64 v[76:77], v[78:79], v[76:77], v[78:79]
	v_and_b32_e32 v81, 0x7fffffff, v81
	v_cmp_eq_f64_e64 s1, 0x7ff00000, v[80:81]
	s_delay_alu instid0(VALU_DEP_1) | instskip(NEXT) | instid1(SALU_CYCLE_1)
	s_or_b32 s1, vcc_lo, s1
	s_and_b32 vcc_lo, s0, s1
	v_cmp_gt_f64_e64 s1, 0, v[54:55]
	s_delay_alu instid0(VALU_DEP_4) | instskip(SKIP_1) | instid1(VALU_DEP_1)
	v_dual_cndmask_b32 v80, v76, v78 :: v_dual_cndmask_b32 v81, v77, v79
	v_trunc_f64_e32 v[76:77], v[26:27]
	v_cmp_eq_f64_e32 vcc_lo, v[76:77], v[26:27]
	v_mul_f64 v[76:77], v[26:27], 0.5
	s_delay_alu instid0(VALU_DEP_1) | instskip(NEXT) | instid1(VALU_DEP_1)
	v_trunc_f64_e32 v[78:79], v[76:77]
	v_cmp_neq_f64_e64 s0, v[78:79], v[76:77]
	v_cndmask_b32_e32 v77, 0, v80, vcc_lo
	s_delay_alu instid0(VALU_DEP_1) | instskip(NEXT) | instid1(VALU_DEP_3)
	v_cndmask_b32_e64 v77, v80, v77, s1
	s_and_b32 s0, vcc_lo, s0
	s_delay_alu instid0(SALU_CYCLE_1) | instskip(SKIP_1) | instid1(VALU_DEP_2)
	v_cndmask_b32_e64 v27, 0x3ff00000, v55, s0
	v_cndmask_b32_e64 v78, 0, v55, s0
	v_bfi_b32 v27, 0x7fffffff, v81, v27
	s_delay_alu instid0(VALU_DEP_1) | instskip(SKIP_1) | instid1(VALU_DEP_2)
	v_cndmask_b32_e32 v76, 0x7ff80000, v27, vcc_lo
	v_cmp_eq_f64_e32 vcc_lo, 0, v[54:55]
	v_cndmask_b32_e64 v27, v27, v76, s1
	v_cmp_class_f64_e64 s1, v[54:55], 0x204
	v_cndmask_b32_e64 v76, 0x7ff00000, 0, vcc_lo
	s_delay_alu instid0(VALU_DEP_2) | instskip(SKIP_1) | instid1(VALU_DEP_2)
	s_or_b32 s1, vcc_lo, s1
	v_cmp_o_f64_e32 vcc_lo, v[54:55], v[54:55]
	v_bfi_b32 v76, 0x7fffffff, v76, v78
	s_delay_alu instid0(VALU_DEP_1) | instskip(SKIP_1) | instid1(VALU_DEP_1)
	v_cndmask_b32_e64 v27, v27, v76, s1
	v_cndmask_b32_e64 v76, v77, 0, s1
	v_cndmask_b32_e32 v54, 0, v76, vcc_lo
	s_delay_alu instid0(VALU_DEP_3) | instskip(NEXT) | instid1(VALU_DEP_1)
	v_cndmask_b32_e32 v55, 0x7ff80000, v27, vcc_lo
	v_cmp_gt_f64_e32 vcc_lo, 0x10000000, v[54:55]
	v_cndmask_b32_e64 v27, 0, 1, vcc_lo
	s_delay_alu instid0(VALU_DEP_1) | instskip(NEXT) | instid1(VALU_DEP_1)
	v_lshlrev_b32_e32 v27, 8, v27
	v_ldexp_f64 v[54:55], v[54:55], v27
	v_cndmask_b32_e64 v27, 0, 0xffffff80, vcc_lo
	s_delay_alu instid0(VALU_DEP_2) | instskip(SKIP_4) | instid1(VALU_DEP_1)
	v_rsq_f64_e32 v[76:77], v[54:55]
	v_cmp_class_f64_e64 vcc_lo, v[54:55], 0x260
	s_waitcnt_depctr 0xfff
	v_mul_f64 v[78:79], v[54:55], v[76:77]
	v_mul_f64 v[76:77], v[76:77], 0.5
	v_fma_f64 v[80:81], -v[76:77], v[78:79], 0.5
	s_delay_alu instid0(VALU_DEP_1) | instskip(SKIP_1) | instid1(VALU_DEP_2)
	v_fma_f64 v[78:79], v[78:79], v[80:81], v[78:79]
	v_fma_f64 v[76:77], v[76:77], v[80:81], v[76:77]
	v_fma_f64 v[82:83], -v[78:79], v[78:79], v[54:55]
	s_delay_alu instid0(VALU_DEP_1) | instskip(NEXT) | instid1(VALU_DEP_1)
	v_fma_f64 v[78:79], v[82:83], v[76:77], v[78:79]
	v_fma_f64 v[80:81], -v[78:79], v[78:79], v[54:55]
	s_delay_alu instid0(VALU_DEP_1) | instskip(NEXT) | instid1(VALU_DEP_1)
	v_fma_f64 v[76:77], v[80:81], v[76:77], v[78:79]
	v_ldexp_f64 v[76:77], v[76:77], v27
	s_delay_alu instid0(VALU_DEP_1) | instskip(SKIP_1) | instid1(VALU_DEP_2)
	v_dual_cndmask_b32 v54, v76, v54 :: v_dual_cndmask_b32 v55, v77, v55
	v_div_scale_f64 v[76:77], null, v[2:3], v[2:3], v[32:33]
	v_mul_f64 v[54:55], v[54:55], -v[36:37]
	s_delay_alu instid0(VALU_DEP_2) | instskip(SKIP_2) | instid1(VALU_DEP_1)
	v_rcp_f64_e32 v[78:79], v[76:77]
	s_waitcnt_depctr 0xfff
	v_fma_f64 v[80:81], -v[76:77], v[78:79], 1.0
	v_fma_f64 v[78:79], v[78:79], v[80:81], v[78:79]
	s_delay_alu instid0(VALU_DEP_1) | instskip(NEXT) | instid1(VALU_DEP_1)
	v_fma_f64 v[80:81], -v[76:77], v[78:79], 1.0
	v_fma_f64 v[78:79], v[78:79], v[80:81], v[78:79]
	v_div_scale_f64 v[80:81], vcc_lo, v[32:33], v[2:3], v[32:33]
	s_delay_alu instid0(VALU_DEP_1) | instskip(NEXT) | instid1(VALU_DEP_1)
	v_mul_f64 v[82:83], v[80:81], v[78:79]
	v_fma_f64 v[76:77], -v[76:77], v[82:83], v[80:81]
	s_delay_alu instid0(VALU_DEP_1) | instskip(NEXT) | instid1(VALU_DEP_1)
	v_div_fmas_f64 v[76:77], v[76:77], v[78:79], v[82:83]
	v_div_fixup_f64 v[76:77], v[76:77], v[2:3], v[32:33]
	s_delay_alu instid0(VALU_DEP_1) | instskip(NEXT) | instid1(VALU_DEP_1)
	v_div_scale_f64 v[78:79], null, v[2:3], v[2:3], v[76:77]
	v_rcp_f64_e32 v[80:81], v[78:79]
	s_waitcnt_depctr 0xfff
	v_fma_f64 v[82:83], -v[78:79], v[80:81], 1.0
	s_delay_alu instid0(VALU_DEP_1) | instskip(NEXT) | instid1(VALU_DEP_1)
	v_fma_f64 v[80:81], v[80:81], v[82:83], v[80:81]
	v_fma_f64 v[82:83], -v[78:79], v[80:81], 1.0
	s_delay_alu instid0(VALU_DEP_1) | instskip(SKIP_1) | instid1(VALU_DEP_1)
	v_fma_f64 v[80:81], v[80:81], v[82:83], v[80:81]
	v_div_scale_f64 v[82:83], vcc_lo, v[76:77], v[2:3], v[76:77]
	v_mul_f64 v[88:89], v[82:83], v[80:81]
	s_delay_alu instid0(VALU_DEP_1) | instskip(NEXT) | instid1(VALU_DEP_1)
	v_fma_f64 v[78:79], -v[78:79], v[88:89], v[82:83]
	v_div_fmas_f64 v[78:79], v[78:79], v[80:81], v[88:89]
	s_delay_alu instid0(VALU_DEP_1) | instskip(NEXT) | instid1(VALU_DEP_1)
	v_div_fixup_f64 v[76:77], v[78:79], v[2:3], v[76:77]
	v_mul_f64 v[74:75], v[76:77], v[74:75]
.LBB1_160:                              ;   in Loop: Header=BB1_79 Depth=1
	s_or_b32 exec_lo, exec_lo, s44
                                        ; implicit-def: $vgpr88
                                        ; implicit-def: $vgpr76_vgpr77
                                        ; implicit-def: $vgpr78_vgpr79
	s_and_saveexec_b32 s0, s38
	s_delay_alu instid0(SALU_CYCLE_1)
	s_xor_b32 s1, exec_lo, s0
	s_cbranch_execz .LBB1_162
; %bb.161:                              ;   in Loop: Header=BB1_79 Depth=1
	v_cmp_le_f64_e64 vcc_lo, 0x7b000000, |v[4:5]|
	s_mov_b32 s94, s96
	s_mov_b32 s101, s99
	v_cndmask_b32_e32 v77, v84, v73, vcc_lo
	v_cndmask_b32_e32 v76, v4, v72, vcc_lo
	s_delay_alu instid0(VALU_DEP_1) | instskip(SKIP_1) | instid1(VALU_DEP_2)
	v_mul_f64 v[78:79], v[70:71], v[76:77]
	v_mul_f64 v[80:81], v[66:67], v[76:77]
	v_fma_f64 v[82:83], v[70:71], v[76:77], -v[78:79]
	s_delay_alu instid0(VALU_DEP_1) | instskip(NEXT) | instid1(VALU_DEP_1)
	v_add_f64 v[88:89], v[80:81], v[82:83]
	v_add_f64 v[90:91], v[88:89], -v[80:81]
	s_delay_alu instid0(VALU_DEP_1) | instskip(SKIP_1) | instid1(VALU_DEP_1)
	v_add_f64 v[82:83], v[82:83], -v[90:91]
	v_add_f64 v[90:91], v[88:89], -v[90:91]
	;; [unrolled: 1-line block ×3, first 2 shown]
	v_fma_f64 v[80:81], v[66:67], v[76:77], -v[80:81]
	s_delay_alu instid0(VALU_DEP_2) | instskip(SKIP_1) | instid1(VALU_DEP_1)
	v_add_f64 v[82:83], v[82:83], v[90:91]
	v_mul_f64 v[90:91], v[68:69], v[76:77]
	v_add_f64 v[92:93], v[90:91], v[80:81]
	s_delay_alu instid0(VALU_DEP_1) | instskip(NEXT) | instid1(VALU_DEP_1)
	v_add_f64 v[94:95], v[92:93], -v[90:91]
	v_add_f64 v[80:81], v[80:81], -v[94:95]
	;; [unrolled: 1-line block ×3, first 2 shown]
	s_delay_alu instid0(VALU_DEP_1) | instskip(NEXT) | instid1(VALU_DEP_1)
	v_add_f64 v[94:95], v[90:91], -v[94:95]
	v_add_f64 v[80:81], v[80:81], v[94:95]
	v_add_f64 v[94:95], v[92:93], v[82:83]
	s_delay_alu instid0(VALU_DEP_1) | instskip(NEXT) | instid1(VALU_DEP_1)
	v_add_f64 v[96:97], v[94:95], -v[92:93]
	v_add_f64 v[82:83], v[82:83], -v[96:97]
	;; [unrolled: 1-line block ×3, first 2 shown]
	s_delay_alu instid0(VALU_DEP_1) | instskip(SKIP_1) | instid1(VALU_DEP_2)
	v_add_f64 v[92:93], v[92:93], -v[96:97]
	v_add_f64 v[96:97], v[78:79], v[88:89]
	v_add_f64 v[82:83], v[82:83], v[92:93]
	s_delay_alu instid0(VALU_DEP_2) | instskip(SKIP_1) | instid1(VALU_DEP_3)
	v_add_f64 v[78:79], v[96:97], -v[78:79]
	v_ldexp_f64 v[96:97], v[96:97], -2
	v_add_f64 v[80:81], v[80:81], v[82:83]
	s_delay_alu instid0(VALU_DEP_3) | instskip(NEXT) | instid1(VALU_DEP_3)
	v_add_f64 v[78:79], v[88:89], -v[78:79]
	v_fract_f64_e32 v[98:99], v[96:97]
	v_cmp_neq_f64_e64 vcc_lo, 0x7ff00000, |v[96:97]|
	s_delay_alu instid0(VALU_DEP_3) | instskip(NEXT) | instid1(VALU_DEP_3)
	v_add_f64 v[82:83], v[78:79], v[94:95]
	v_dual_cndmask_b32 v89, 0, v99 :: v_dual_cndmask_b32 v88, 0, v98
	v_fma_f64 v[76:77], v[68:69], v[76:77], -v[90:91]
	s_delay_alu instid0(VALU_DEP_3) | instskip(NEXT) | instid1(VALU_DEP_2)
	v_add_f64 v[78:79], v[82:83], -v[78:79]
	v_add_f64 v[76:77], v[76:77], v[80:81]
	s_delay_alu instid0(VALU_DEP_4) | instskip(NEXT) | instid1(VALU_DEP_3)
	v_ldexp_f64 v[80:81], v[88:89], 2
	v_add_f64 v[78:79], v[94:95], -v[78:79]
	s_delay_alu instid0(VALU_DEP_2) | instskip(NEXT) | instid1(VALU_DEP_2)
	v_add_f64 v[88:89], v[82:83], v[80:81]
	v_add_f64 v[76:77], v[78:79], v[76:77]
	s_delay_alu instid0(VALU_DEP_2) | instskip(SKIP_1) | instid1(VALU_DEP_1)
	v_cmp_gt_f64_e32 vcc_lo, 0, v[88:89]
	v_cndmask_b32_e64 v27, 0, 0x40100000, vcc_lo
	v_add_f64 v[80:81], v[80:81], v[26:27]
	s_delay_alu instid0(VALU_DEP_1) | instskip(NEXT) | instid1(VALU_DEP_1)
	v_add_f64 v[88:89], v[82:83], v[80:81]
	v_cvt_i32_f64_e32 v27, v[88:89]
	s_delay_alu instid0(VALU_DEP_1) | instskip(NEXT) | instid1(VALU_DEP_1)
	v_cvt_f64_i32_e32 v[88:89], v27
	v_add_f64 v[80:81], v[80:81], -v[88:89]
	s_delay_alu instid0(VALU_DEP_1) | instskip(NEXT) | instid1(VALU_DEP_1)
	v_add_f64 v[78:79], v[82:83], v[80:81]
	v_add_f64 v[80:81], v[78:79], -v[80:81]
	v_cmp_le_f64_e32 vcc_lo, 0.5, v[78:79]
	s_delay_alu instid0(VALU_DEP_2) | instskip(SKIP_2) | instid1(VALU_DEP_1)
	v_add_f64 v[80:81], v[82:83], -v[80:81]
	v_add_co_ci_u32_e64 v88, s0, 0, v27, vcc_lo
	v_cndmask_b32_e64 v27, 0, 0x3ff00000, vcc_lo
	v_add_f64 v[78:79], v[78:79], -v[26:27]
	s_delay_alu instid0(VALU_DEP_4) | instskip(NEXT) | instid1(VALU_DEP_1)
	v_add_f64 v[76:77], v[76:77], v[80:81]
	v_add_f64 v[80:81], v[78:79], v[76:77]
	s_delay_alu instid0(VALU_DEP_1) | instskip(NEXT) | instid1(VALU_DEP_1)
	v_add_f64 v[78:79], v[80:81], -v[78:79]
	v_add_f64 v[76:77], v[76:77], -v[78:79]
	v_mul_f64 v[78:79], v[80:81], s[94:95]
	s_delay_alu instid0(VALU_DEP_1) | instskip(NEXT) | instid1(VALU_DEP_1)
	v_fma_f64 v[82:83], v[80:81], s[94:95], -v[78:79]
	v_fma_f64 v[80:81], v[80:81], s[100:101], v[82:83]
	s_delay_alu instid0(VALU_DEP_1) | instskip(NEXT) | instid1(VALU_DEP_1)
	v_fma_f64 v[80:81], v[76:77], s[94:95], v[80:81]
	v_add_f64 v[76:77], v[78:79], v[80:81]
	s_delay_alu instid0(VALU_DEP_1) | instskip(NEXT) | instid1(VALU_DEP_1)
	v_add_f64 v[78:79], v[76:77], -v[78:79]
	v_add_f64 v[78:79], v[80:81], -v[78:79]
	s_and_not1_saveexec_b32 s0, s1
	s_cbranch_execz .LBB1_164
	s_branch .LBB1_163
.LBB1_162:                              ;   in Loop: Header=BB1_79 Depth=1
	s_and_not1_saveexec_b32 s0, s1
	s_cbranch_execz .LBB1_164
.LBB1_163:                              ;   in Loop: Header=BB1_79 Depth=1
	v_mul_f64 v[76:77], |v[4:5]|, s[102:103]
	s_mov_b32 s98, s10
	s_delay_alu instid0(VALU_DEP_1) | instskip(NEXT) | instid1(VALU_DEP_1)
	v_rndne_f64_e32 v[80:81], v[76:77]
	v_fma_f64 v[76:77], v[80:81], s[96:97], |v[4:5]|
	v_mul_f64 v[78:79], v[80:81], s[10:11]
	s_delay_alu instid0(VALU_DEP_2) | instskip(NEXT) | instid1(VALU_DEP_2)
	v_fma_f64 v[88:89], v[80:81], s[10:11], v[76:77]
	v_add_f64 v[82:83], v[76:77], v[78:79]
	s_delay_alu instid0(VALU_DEP_1) | instskip(NEXT) | instid1(VALU_DEP_3)
	v_add_f64 v[76:77], v[76:77], -v[82:83]
	v_add_f64 v[82:83], v[82:83], -v[88:89]
	s_delay_alu instid0(VALU_DEP_2) | instskip(SKIP_1) | instid1(VALU_DEP_2)
	v_add_f64 v[76:77], v[76:77], v[78:79]
	v_fma_f64 v[78:79], v[80:81], s[98:99], v[78:79]
	v_add_f64 v[76:77], v[82:83], v[76:77]
	s_delay_alu instid0(VALU_DEP_1) | instskip(NEXT) | instid1(VALU_DEP_1)
	v_add_f64 v[76:77], v[76:77], -v[78:79]
	v_fma_f64 v[78:79], v[80:81], s[6:7], v[76:77]
	s_delay_alu instid0(VALU_DEP_1) | instskip(NEXT) | instid1(VALU_DEP_1)
	v_add_f64 v[76:77], v[88:89], v[78:79]
	v_add_f64 v[82:83], v[76:77], -v[88:89]
	v_cvt_i32_f64_e32 v88, v[80:81]
	s_delay_alu instid0(VALU_DEP_2)
	v_add_f64 v[78:79], v[78:79], -v[82:83]
.LBB1_164:                              ;   in Loop: Header=BB1_79 Depth=1
	s_or_b32 exec_lo, exec_lo, s0
                                        ; implicit-def: $vgpr89
                                        ; implicit-def: $vgpr80_vgpr81
                                        ; implicit-def: $vgpr82_vgpr83
	s_and_saveexec_b32 s0, s38
	s_delay_alu instid0(SALU_CYCLE_1)
	s_xor_b32 s0, exec_lo, s0
	s_cbranch_execz .LBB1_166
; %bb.165:                              ;   in Loop: Header=BB1_79 Depth=1
	v_cmp_le_f64_e64 vcc_lo, 0x7b000000, |v[4:5]|
	s_mov_b32 s94, s96
	s_mov_b32 s101, s99
	v_cndmask_b32_e32 v73, v84, v73, vcc_lo
	v_cndmask_b32_e32 v72, v4, v72, vcc_lo
	s_delay_alu instid0(VALU_DEP_1) | instskip(SKIP_2) | instid1(VALU_DEP_3)
	v_mul_f64 v[80:81], v[70:71], v[72:73]
	v_mul_f64 v[82:83], v[66:67], v[72:73]
	;; [unrolled: 1-line block ×3, first 2 shown]
	v_fma_f64 v[70:71], v[70:71], v[72:73], -v[80:81]
	s_delay_alu instid0(VALU_DEP_3) | instskip(NEXT) | instid1(VALU_DEP_3)
	v_fma_f64 v[66:67], v[66:67], v[72:73], -v[82:83]
	v_fma_f64 v[68:69], v[68:69], v[72:73], -v[84:85]
	s_delay_alu instid0(VALU_DEP_3) | instskip(NEXT) | instid1(VALU_DEP_1)
	v_add_f64 v[89:90], v[82:83], v[70:71]
	v_add_f64 v[72:73], v[89:90], -v[82:83]
	s_delay_alu instid0(VALU_DEP_1) | instskip(SKIP_1) | instid1(VALU_DEP_1)
	v_add_f64 v[70:71], v[70:71], -v[72:73]
	v_add_f64 v[72:73], v[89:90], -v[72:73]
	v_add_f64 v[72:73], v[82:83], -v[72:73]
	v_add_f64 v[82:83], v[80:81], v[89:90]
	s_delay_alu instid0(VALU_DEP_2) | instskip(NEXT) | instid1(VALU_DEP_2)
	v_add_f64 v[70:71], v[70:71], v[72:73]
	v_add_f64 v[80:81], v[82:83], -v[80:81]
	v_ldexp_f64 v[82:83], v[82:83], -2
	s_delay_alu instid0(VALU_DEP_2) | instskip(SKIP_1) | instid1(VALU_DEP_3)
	v_add_f64 v[80:81], v[89:90], -v[80:81]
	v_add_f64 v[89:90], v[84:85], v[66:67]
	v_fract_f64_e32 v[72:73], v[82:83]
	v_cmp_neq_f64_e64 vcc_lo, 0x7ff00000, |v[82:83]|
	s_delay_alu instid0(VALU_DEP_3) | instskip(NEXT) | instid1(VALU_DEP_3)
	v_add_f64 v[82:83], v[89:90], -v[84:85]
	v_dual_cndmask_b32 v73, 0, v73 :: v_dual_cndmask_b32 v72, 0, v72
	s_delay_alu instid0(VALU_DEP_1) | instskip(NEXT) | instid1(VALU_DEP_3)
	v_ldexp_f64 v[72:73], v[72:73], 2
	v_add_f64 v[66:67], v[66:67], -v[82:83]
	v_add_f64 v[82:83], v[89:90], -v[82:83]
	s_delay_alu instid0(VALU_DEP_1) | instskip(SKIP_1) | instid1(VALU_DEP_2)
	v_add_f64 v[82:83], v[84:85], -v[82:83]
	v_add_f64 v[84:85], v[89:90], v[70:71]
	v_add_f64 v[66:67], v[66:67], v[82:83]
	s_delay_alu instid0(VALU_DEP_2) | instskip(NEXT) | instid1(VALU_DEP_1)
	v_add_f64 v[82:83], v[84:85], -v[89:90]
	v_add_f64 v[70:71], v[70:71], -v[82:83]
	;; [unrolled: 1-line block ×3, first 2 shown]
	s_delay_alu instid0(VALU_DEP_1) | instskip(SKIP_1) | instid1(VALU_DEP_2)
	v_add_f64 v[82:83], v[89:90], -v[82:83]
	v_add_f64 v[89:90], v[80:81], v[84:85]
	v_add_f64 v[70:71], v[70:71], v[82:83]
	s_delay_alu instid0(VALU_DEP_2) | instskip(SKIP_1) | instid1(VALU_DEP_3)
	v_add_f64 v[91:92], v[89:90], v[72:73]
	v_add_f64 v[80:81], v[89:90], -v[80:81]
	v_add_f64 v[66:67], v[66:67], v[70:71]
	s_delay_alu instid0(VALU_DEP_3) | instskip(NEXT) | instid1(VALU_DEP_3)
	v_cmp_gt_f64_e32 vcc_lo, 0, v[91:92]
	v_add_f64 v[80:81], v[84:85], -v[80:81]
	s_delay_alu instid0(VALU_DEP_3) | instskip(SKIP_1) | instid1(VALU_DEP_1)
	v_add_f64 v[66:67], v[68:69], v[66:67]
	v_cndmask_b32_e64 v27, 0, 0x40100000, vcc_lo
	v_add_f64 v[72:73], v[72:73], v[26:27]
	s_delay_alu instid0(VALU_DEP_3) | instskip(NEXT) | instid1(VALU_DEP_2)
	v_add_f64 v[66:67], v[80:81], v[66:67]
	v_add_f64 v[82:83], v[89:90], v[72:73]
	s_delay_alu instid0(VALU_DEP_1) | instskip(NEXT) | instid1(VALU_DEP_1)
	v_cvt_i32_f64_e32 v91, v[82:83]
	v_cvt_f64_i32_e32 v[82:83], v91
	s_delay_alu instid0(VALU_DEP_1) | instskip(NEXT) | instid1(VALU_DEP_1)
	v_add_f64 v[72:73], v[72:73], -v[82:83]
	v_add_f64 v[70:71], v[89:90], v[72:73]
	s_delay_alu instid0(VALU_DEP_1) | instskip(SKIP_1) | instid1(VALU_DEP_2)
	v_add_f64 v[68:69], v[70:71], -v[72:73]
	v_cmp_le_f64_e32 vcc_lo, 0.5, v[70:71]
	v_add_f64 v[68:69], v[89:90], -v[68:69]
	v_cndmask_b32_e64 v27, 0, 0x3ff00000, vcc_lo
	v_add_co_ci_u32_e32 v89, vcc_lo, 0, v91, vcc_lo
	s_delay_alu instid0(VALU_DEP_2) | instskip(NEXT) | instid1(VALU_DEP_4)
	v_add_f64 v[70:71], v[70:71], -v[26:27]
	v_add_f64 v[66:67], v[66:67], v[68:69]
	s_delay_alu instid0(VALU_DEP_1) | instskip(NEXT) | instid1(VALU_DEP_1)
	v_add_f64 v[68:69], v[70:71], v[66:67]
	v_mul_f64 v[72:73], v[68:69], s[94:95]
	v_add_f64 v[70:71], v[68:69], -v[70:71]
	s_delay_alu instid0(VALU_DEP_2) | instskip(NEXT) | instid1(VALU_DEP_2)
	v_fma_f64 v[80:81], v[68:69], s[94:95], -v[72:73]
	v_add_f64 v[66:67], v[66:67], -v[70:71]
	s_delay_alu instid0(VALU_DEP_2) | instskip(NEXT) | instid1(VALU_DEP_1)
	v_fma_f64 v[68:69], v[68:69], s[100:101], v[80:81]
	v_fma_f64 v[66:67], v[66:67], s[94:95], v[68:69]
	s_delay_alu instid0(VALU_DEP_1) | instskip(NEXT) | instid1(VALU_DEP_1)
	v_add_f64 v[80:81], v[72:73], v[66:67]
	v_add_f64 v[68:69], v[80:81], -v[72:73]
	s_delay_alu instid0(VALU_DEP_1)
	v_add_f64 v[82:83], v[66:67], -v[68:69]
	s_mov_b32 s4, s64
	s_mov_b32 s5, s87
	s_and_not1_saveexec_b32 s0, s0
	s_cbranch_execnz .LBB1_167
	s_branch .LBB1_168
.LBB1_166:                              ;   in Loop: Header=BB1_79 Depth=1
	s_mov_b32 s4, s64
	s_mov_b32 s5, s87
	s_and_not1_saveexec_b32 s0, s0
	s_cbranch_execz .LBB1_168
.LBB1_167:                              ;   in Loop: Header=BB1_79 Depth=1
	v_mul_f64 v[66:67], |v[4:5]|, s[102:103]
	s_mov_b32 s98, s10
	s_delay_alu instid0(VALU_DEP_1) | instskip(NEXT) | instid1(VALU_DEP_1)
	v_rndne_f64_e32 v[66:67], v[66:67]
	v_fma_f64 v[68:69], v[66:67], s[96:97], |v[4:5]|
	v_mul_f64 v[70:71], v[66:67], s[10:11]
	v_cvt_i32_f64_e32 v89, v[66:67]
	s_delay_alu instid0(VALU_DEP_3) | instskip(NEXT) | instid1(VALU_DEP_3)
	v_fma_f64 v[82:83], v[66:67], s[10:11], v[68:69]
	v_add_f64 v[72:73], v[68:69], v[70:71]
	s_delay_alu instid0(VALU_DEP_1) | instskip(NEXT) | instid1(VALU_DEP_3)
	v_add_f64 v[68:69], v[68:69], -v[72:73]
	v_add_f64 v[72:73], v[72:73], -v[82:83]
	s_delay_alu instid0(VALU_DEP_2) | instskip(SKIP_1) | instid1(VALU_DEP_2)
	v_add_f64 v[68:69], v[68:69], v[70:71]
	v_fma_f64 v[70:71], v[66:67], s[98:99], v[70:71]
	v_add_f64 v[68:69], v[72:73], v[68:69]
	s_delay_alu instid0(VALU_DEP_1) | instskip(NEXT) | instid1(VALU_DEP_1)
	v_add_f64 v[68:69], v[68:69], -v[70:71]
	v_fma_f64 v[68:69], v[66:67], s[6:7], v[68:69]
	s_delay_alu instid0(VALU_DEP_1) | instskip(NEXT) | instid1(VALU_DEP_1)
	v_add_f64 v[80:81], v[82:83], v[68:69]
	v_add_f64 v[70:71], v[80:81], -v[82:83]
	s_delay_alu instid0(VALU_DEP_1)
	v_add_f64 v[82:83], v[68:69], -v[70:71]
.LBB1_168:                              ;   in Loop: Header=BB1_79 Depth=1
	s_or_b32 exec_lo, exec_lo, s0
	v_frexp_mant_f64_e64 v[66:67], |v[2:3]|
	v_readlane_b32 s86, v184, 14
	v_readlane_b32 s87, v184, 15
	s_mov_b32 s86, s60
	s_mov_b32 s0, 0x4222de17
	;; [unrolled: 1-line block ×5, first 2 shown]
	v_cmp_eq_f64_e64 s46, 1.0, v[2:3]
	s_mov_b32 s41, s5
	v_cmp_eq_f64_e64 s48, 0, v[2:3]
	v_cmp_gt_f64_e64 s66, 0, v[2:3]
	v_cmp_gt_f64_e32 vcc_lo, s[86:87], v[66:67]
	v_cndmask_b32_e64 v27, 0x3ff00000, 2.0, vcc_lo
	s_delay_alu instid0(VALU_DEP_1) | instskip(SKIP_1) | instid1(VALU_DEP_2)
	v_mul_f64 v[66:67], v[66:67], v[26:27]
	v_frexp_exp_i32_f64_e32 v27, v[2:3]
	v_add_f64 v[68:69], v[66:67], 1.0
	v_add_f64 v[84:85], v[66:67], -1.0
	s_delay_alu instid0(VALU_DEP_3) | instskip(NEXT) | instid1(VALU_DEP_3)
	v_subrev_co_ci_u32_e32 v27, vcc_lo, 0, v27, vcc_lo
	v_rcp_f64_e32 v[70:71], v[68:69]
	v_add_f64 v[90:91], v[68:69], -1.0
	s_delay_alu instid0(VALU_DEP_1) | instskip(SKIP_2) | instid1(VALU_DEP_1)
	v_add_f64 v[66:67], v[66:67], -v[90:91]
	s_waitcnt_depctr 0xfff
	v_fma_f64 v[72:73], -v[68:69], v[70:71], 1.0
	v_fma_f64 v[70:71], v[72:73], v[70:71], v[70:71]
	s_delay_alu instid0(VALU_DEP_1) | instskip(NEXT) | instid1(VALU_DEP_1)
	v_fma_f64 v[72:73], -v[68:69], v[70:71], 1.0
	v_fma_f64 v[70:71], v[72:73], v[70:71], v[70:71]
	s_delay_alu instid0(VALU_DEP_1) | instskip(NEXT) | instid1(VALU_DEP_1)
	v_mul_f64 v[72:73], v[84:85], v[70:71]
	v_mul_f64 v[92:93], v[68:69], v[72:73]
	s_delay_alu instid0(VALU_DEP_1) | instskip(NEXT) | instid1(VALU_DEP_1)
	v_fma_f64 v[68:69], v[72:73], v[68:69], -v[92:93]
	v_fma_f64 v[66:67], v[72:73], v[66:67], v[68:69]
	s_delay_alu instid0(VALU_DEP_1) | instskip(NEXT) | instid1(VALU_DEP_1)
	v_add_f64 v[68:69], v[92:93], v[66:67]
	v_add_f64 v[90:91], v[84:85], -v[68:69]
	v_add_f64 v[92:93], v[68:69], -v[92:93]
	s_delay_alu instid0(VALU_DEP_2) | instskip(NEXT) | instid1(VALU_DEP_2)
	v_add_f64 v[84:85], v[84:85], -v[90:91]
	v_add_f64 v[66:67], v[92:93], -v[66:67]
	s_delay_alu instid0(VALU_DEP_2) | instskip(NEXT) | instid1(VALU_DEP_1)
	v_add_f64 v[68:69], v[84:85], -v[68:69]
	v_add_f64 v[66:67], v[66:67], v[68:69]
	s_delay_alu instid0(VALU_DEP_1) | instskip(NEXT) | instid1(VALU_DEP_1)
	v_add_f64 v[66:67], v[90:91], v[66:67]
	v_mul_f64 v[66:67], v[70:71], v[66:67]
	s_delay_alu instid0(VALU_DEP_1) | instskip(NEXT) | instid1(VALU_DEP_1)
	v_add_f64 v[68:69], v[72:73], v[66:67]
	v_add_f64 v[70:71], v[68:69], -v[72:73]
	v_mul_f64 v[72:73], v[68:69], v[68:69]
	s_delay_alu instid0(VALU_DEP_2) | instskip(NEXT) | instid1(VALU_DEP_2)
	v_add_f64 v[66:67], v[66:67], -v[70:71]
	v_fma_f64 v[70:71], v[68:69], v[68:69], -v[72:73]
	s_delay_alu instid0(VALU_DEP_2) | instskip(NEXT) | instid1(VALU_DEP_1)
	v_add_f64 v[84:85], v[66:67], v[66:67]
	v_fma_f64 v[70:71], v[68:69], v[84:85], v[70:71]
	s_delay_alu instid0(VALU_DEP_1) | instskip(NEXT) | instid1(VALU_DEP_1)
	v_add_f64 v[84:85], v[72:73], v[70:71]
	v_fma_f64 v[90:91], v[84:85], s[0:1], s[2:3]
	s_mov_b32 s0, 0x3abe935a
	s_mov_b32 s1, 0x3fbe25e4
	v_add_f64 v[72:73], v[84:85], -v[72:73]
	s_mov_b32 s3, s87
	s_delay_alu instid0(VALU_DEP_2) | instskip(SKIP_2) | instid1(VALU_DEP_2)
	v_fma_f64 v[90:91], v[84:85], v[90:91], s[0:1]
	s_mov_b32 s0, 0x47e6c9c2
	s_mov_b32 s1, 0x3fc110ef
	v_add_f64 v[70:71], v[70:71], -v[72:73]
	s_delay_alu instid0(VALU_DEP_2)
	v_fma_f64 v[90:91], v[84:85], v[90:91], s[0:1]
	s_mov_b32 s0, 0xcfa74449
	s_mov_b32 s1, 0x3fc3b13b
	s_delay_alu instid0(VALU_DEP_1) | instid1(SALU_CYCLE_1)
	v_fma_f64 v[90:91], v[84:85], v[90:91], s[0:1]
	s_mov_b32 s0, 0x71bf3c30
	s_mov_b32 s1, 0x3fc745d1
	s_delay_alu instid0(VALU_DEP_1) | instid1(SALU_CYCLE_1)
	;; [unrolled: 4-line block ×5, first 2 shown]
	v_fma_f64 v[90:91], v[84:85], v[90:91], s[0:1]
	v_readlane_b32 s0, v184, 6
	v_readlane_b32 s1, v184, 7
	s_mov_b32 s0, s60
	v_writelane_b32 v184, s2, 14
	s_delay_alu instid0(VALU_DEP_2) | instskip(SKIP_4) | instid1(VALU_DEP_1)
	s_mov_b32 s101, s1
	v_writelane_b32 v184, s3, 15
	s_mov_b32 s2, 0x3b39803f
	s_mov_b32 s3, 0x3c7abc9e
	;; [unrolled: 1-line block ×3, first 2 shown]
	v_readlane_b32 s24, v184, 8
	v_readlane_b32 s25, v184, 9
	s_mov_b32 s24, s4
	v_mul_f64 v[92:93], v[84:85], v[90:91]
	s_delay_alu instid0(VALU_DEP_1) | instskip(NEXT) | instid1(VALU_DEP_1)
	v_fma_f64 v[72:73], v[84:85], v[90:91], -v[92:93]
	v_fma_f64 v[72:73], v[70:71], v[90:91], v[72:73]
	v_mul_f64 v[90:91], v[68:69], v[84:85]
	s_delay_alu instid0(VALU_DEP_1) | instskip(NEXT) | instid1(VALU_DEP_1)
	v_fma_f64 v[94:95], v[84:85], v[68:69], -v[90:91]
	v_fma_f64 v[84:85], v[84:85], v[66:67], v[94:95]
	s_delay_alu instid0(VALU_DEP_4) | instskip(SKIP_1) | instid1(VALU_DEP_3)
	v_add_f64 v[94:95], v[92:93], v[72:73]
	v_ldexp_f64 v[66:67], v[66:67], 1
	v_fma_f64 v[70:71], v[70:71], v[68:69], v[84:85]
	s_delay_alu instid0(VALU_DEP_3) | instskip(SKIP_1) | instid1(VALU_DEP_2)
	v_add_f64 v[92:93], v[94:95], -v[92:93]
	v_ldexp_f64 v[68:69], v[68:69], 1
	v_add_f64 v[72:73], v[72:73], -v[92:93]
	v_add_f64 v[92:93], v[94:95], s[86:87]
	s_mov_b32 s86, 0x652b82fe
	s_mov_b32 s87, 0x3ff71547
	s_delay_alu instid0(VALU_DEP_1)
	v_add_f64 v[96:97], v[92:93], s[0:1]
	s_mov_b32 s0, 0xd5df274d
	s_mov_b32 s1, 0x3c8543b0
	s_delay_alu instid0(VALU_DEP_3) | instid1(SALU_CYCLE_1)
	v_add_f64 v[72:73], v[72:73], s[0:1]
	s_mov_b32 s0, 0xfefa39ef
	s_mov_b32 s1, 0x3fe62e42
	s_delay_alu instid0(VALU_DEP_2) | instskip(NEXT) | instid1(VALU_DEP_1)
	v_add_f64 v[94:95], v[94:95], -v[96:97]
	v_add_f64 v[72:73], v[72:73], v[94:95]
	s_delay_alu instid0(VALU_DEP_1) | instskip(NEXT) | instid1(VALU_DEP_1)
	v_add_f64 v[84:85], v[92:93], v[72:73]
	v_add_f64 v[92:93], v[92:93], -v[84:85]
	s_delay_alu instid0(VALU_DEP_1) | instskip(SKIP_1) | instid1(VALU_DEP_1)
	v_add_f64 v[72:73], v[72:73], v[92:93]
	v_add_f64 v[92:93], v[90:91], v[70:71]
	v_mul_f64 v[94:95], v[92:93], v[84:85]
	v_add_f64 v[90:91], v[92:93], -v[90:91]
	s_delay_alu instid0(VALU_DEP_2) | instskip(NEXT) | instid1(VALU_DEP_2)
	v_fma_f64 v[96:97], v[92:93], v[84:85], -v[94:95]
	v_add_f64 v[70:71], v[70:71], -v[90:91]
	s_delay_alu instid0(VALU_DEP_2) | instskip(SKIP_1) | instid1(VALU_DEP_2)
	v_fma_f64 v[72:73], v[92:93], v[72:73], v[96:97]
	v_cvt_f64_i32_e32 v[92:93], v27
	v_fma_f64 v[70:71], v[70:71], v[84:85], v[72:73]
	s_delay_alu instid0(VALU_DEP_1) | instskip(NEXT) | instid1(VALU_DEP_1)
	v_add_f64 v[72:73], v[94:95], v[70:71]
	v_add_f64 v[84:85], v[68:69], v[72:73]
	v_add_f64 v[90:91], v[72:73], -v[94:95]
	s_delay_alu instid0(VALU_DEP_2) | instskip(NEXT) | instid1(VALU_DEP_2)
	v_add_f64 v[68:69], v[84:85], -v[68:69]
	v_add_f64 v[70:71], v[70:71], -v[90:91]
	v_mul_f64 v[90:91], v[92:93], s[0:1]
	s_delay_alu instid0(VALU_DEP_3) | instskip(NEXT) | instid1(VALU_DEP_3)
	v_add_f64 v[68:69], v[72:73], -v[68:69]
	v_add_f64 v[66:67], v[66:67], v[70:71]
	s_delay_alu instid0(VALU_DEP_3) | instskip(SKIP_1) | instid1(VALU_DEP_2)
	v_fma_f64 v[72:73], v[92:93], s[0:1], -v[90:91]
	s_mov_b32 s1, s25
	v_add_f64 v[66:67], v[66:67], v[68:69]
	s_delay_alu instid0(VALU_DEP_2) | instskip(SKIP_2) | instid1(VALU_DEP_2)
	v_fma_f64 v[70:71], v[92:93], s[2:3], v[72:73]
	s_mov_b32 s2, 0x6a5dcb37
	s_mov_b32 s3, 0x3e5ade15
	v_add_f64 v[72:73], v[84:85], v[66:67]
	s_delay_alu instid0(VALU_DEP_2) | instskip(NEXT) | instid1(VALU_DEP_2)
	v_add_f64 v[68:69], v[90:91], v[70:71]
	v_add_f64 v[84:85], v[72:73], -v[84:85]
	s_delay_alu instid0(VALU_DEP_2) | instskip(SKIP_1) | instid1(VALU_DEP_3)
	v_add_f64 v[90:91], v[68:69], -v[90:91]
	v_add_f64 v[92:93], v[68:69], v[72:73]
	v_add_f64 v[66:67], v[66:67], -v[84:85]
	s_delay_alu instid0(VALU_DEP_3) | instskip(NEXT) | instid1(VALU_DEP_3)
	v_add_f64 v[70:71], v[70:71], -v[90:91]
	v_add_f64 v[90:91], v[92:93], -v[68:69]
	s_delay_alu instid0(VALU_DEP_1) | instskip(SKIP_1) | instid1(VALU_DEP_2)
	v_add_f64 v[84:85], v[92:93], -v[90:91]
	v_add_f64 v[72:73], v[72:73], -v[90:91]
	;; [unrolled: 1-line block ×3, first 2 shown]
	v_add_f64 v[84:85], v[70:71], v[66:67]
	s_delay_alu instid0(VALU_DEP_2) | instskip(NEXT) | instid1(VALU_DEP_2)
	v_add_f64 v[68:69], v[72:73], v[68:69]
	v_add_f64 v[72:73], v[84:85], -v[70:71]
	s_delay_alu instid0(VALU_DEP_2) | instskip(NEXT) | instid1(VALU_DEP_2)
	v_add_f64 v[68:69], v[84:85], v[68:69]
	v_add_f64 v[84:85], v[84:85], -v[72:73]
	v_add_f64 v[66:67], v[66:67], -v[72:73]
	s_delay_alu instid0(VALU_DEP_3) | instskip(NEXT) | instid1(VALU_DEP_3)
	v_add_f64 v[90:91], v[92:93], v[68:69]
	v_add_f64 v[70:71], v[70:71], -v[84:85]
	s_delay_alu instid0(VALU_DEP_2) | instskip(NEXT) | instid1(VALU_DEP_2)
	v_add_f64 v[72:73], v[90:91], -v[92:93]
	v_add_f64 v[66:67], v[66:67], v[70:71]
	s_delay_alu instid0(VALU_DEP_2) | instskip(NEXT) | instid1(VALU_DEP_1)
	v_add_f64 v[68:69], v[68:69], -v[72:73]
	v_add_f64 v[66:67], v[66:67], v[68:69]
	v_cndmask_b32_e64 v69, 0xbfeae147, v25, s46
	v_cndmask_b32_e64 v68, 0xae147ae1, 0, s46
	s_delay_alu instid0(VALU_DEP_3) | instskip(NEXT) | instid1(VALU_DEP_1)
	v_add_f64 v[70:71], v[90:91], v[66:67]
	v_add_f64 v[72:73], v[70:71], -v[90:91]
	s_delay_alu instid0(VALU_DEP_3) | instskip(NEXT) | instid1(VALU_DEP_2)
	v_mul_f64 v[84:85], v[68:69], v[70:71]
	v_add_f64 v[72:73], v[66:67], -v[72:73]
	s_delay_alu instid0(VALU_DEP_2) | instskip(SKIP_1) | instid1(VALU_DEP_2)
	v_fma_f64 v[66:67], v[68:69], v[70:71], -v[84:85]
	v_cmp_class_f64_e64 vcc_lo, v[84:85], 0x204
	v_fma_f64 v[66:67], v[68:69], v[72:73], v[66:67]
	s_delay_alu instid0(VALU_DEP_1) | instskip(NEXT) | instid1(VALU_DEP_1)
	v_add_f64 v[90:91], v[84:85], v[66:67]
	v_dual_cndmask_b32 v93, v91, v85 :: v_dual_cndmask_b32 v92, v90, v84
	v_add_f64 v[84:85], v[90:91], -v[84:85]
	s_delay_alu instid0(VALU_DEP_2) | instskip(SKIP_1) | instid1(VALU_DEP_3)
	v_mul_f64 v[90:91], v[92:93], s[86:87]
	v_cmp_neq_f64_e64 vcc_lo, 0x7ff00000, |v[92:93]|
	v_add_f64 v[66:67], v[66:67], -v[84:85]
	s_delay_alu instid0(VALU_DEP_3) | instskip(NEXT) | instid1(VALU_DEP_2)
	v_rndne_f64_e32 v[90:91], v[90:91]
	v_dual_cndmask_b32 v67, 0, v67 :: v_dual_cndmask_b32 v66, 0, v66
	v_cmp_ngt_f64_e32 vcc_lo, 0xc090cc00, v[92:93]
	s_delay_alu instid0(VALU_DEP_3) | instskip(SKIP_3) | instid1(VALU_DEP_2)
	v_fma_f64 v[94:95], v[90:91], s[0:1], v[92:93]
	s_mov_b32 s0, 0xfca7ab0c
	s_mov_b32 s1, 0x3e928af3
	v_cvt_i32_f64_e32 v27, v[90:91]
	v_fma_f64 v[94:95], v[90:91], s[40:41], v[94:95]
	v_mul_f64 v[90:91], v[68:69], 0.5
	s_delay_alu instid0(VALU_DEP_2)
	v_fma_f64 v[96:97], v[94:95], s[2:3], s[0:1]
	s_mov_b32 s0, 0x623fde64
	s_mov_b32 s1, 0x3ec71dee
	s_delay_alu instid0(VALU_DEP_1) | instid1(SALU_CYCLE_1)
	v_fma_f64 v[96:97], v[94:95], v[96:97], s[0:1]
	s_mov_b32 s0, 0x7c89e6b0
	s_mov_b32 s1, 0x3efa0199
	s_delay_alu instid0(VALU_DEP_1) | instid1(SALU_CYCLE_1)
	;; [unrolled: 4-line block ×4, first 2 shown]
	v_fma_f64 v[96:97], v[94:95], v[96:97], s[0:1]
	v_readlane_b32 s0, v184, 10
	v_readlane_b32 s1, v184, 11
	s_mov_b32 s1, s37
	s_delay_alu instid0(VALU_DEP_2) | instskip(NEXT) | instid1(VALU_DEP_3)
	s_mov_b32 s64, s0
	v_fma_f64 v[96:97], v[94:95], v[96:97], s[0:1]
	s_mov_b32 s0, s4
	s_mov_b32 s1, s61
	s_delay_alu instid0(VALU_DEP_1) | instid1(SALU_CYCLE_1)
	v_fma_f64 v[96:97], v[94:95], v[96:97], s[0:1]
	s_mov_b32 s0, 0x55555511
	s_mov_b32 s1, 0x3fc55555
	s_delay_alu instid0(VALU_DEP_1) | instid1(SALU_CYCLE_1)
	;; [unrolled: 4-line block ×3, first 2 shown]
	v_fma_f64 v[96:97], v[94:95], v[96:97], s[0:1]
	v_cmp_lt_f64_e64 s1, 0x40900000, v[92:93]
	s_delay_alu instid0(VALU_DEP_2) | instskip(NEXT) | instid1(VALU_DEP_1)
	v_fma_f64 v[96:97], v[94:95], v[96:97], 1.0
	v_fma_f64 v[94:95], v[94:95], v[96:97], 1.0
	s_delay_alu instid0(VALU_DEP_1) | instskip(NEXT) | instid1(VALU_DEP_1)
	v_ldexp_f64 v[84:85], v[94:95], v27
	v_cndmask_b32_e64 v27, v84, 0, s1
	s_delay_alu instid0(VALU_DEP_2) | instskip(NEXT) | instid1(VALU_DEP_2)
	v_cndmask_b32_e64 v94, v85, 0x7ff00000, s1
	v_dual_cndmask_b32 v92, 0, v27 :: v_dual_and_b32 v85, 0x7fffffff, v85
	s_delay_alu instid0(VALU_DEP_2) | instskip(NEXT) | instid1(VALU_DEP_2)
	v_cndmask_b32_e32 v93, 0, v94, vcc_lo
	v_cmp_eq_f64_e64 s2, 0x7ff00000, v[84:85]
	v_trunc_f64_e32 v[84:85], v[90:91]
	s_delay_alu instid0(VALU_DEP_3) | instskip(NEXT) | instid1(VALU_DEP_3)
	v_fma_f64 v[66:67], v[92:93], v[66:67], v[92:93]
	s_or_b32 s0, s1, s2
	s_delay_alu instid0(VALU_DEP_2) | instskip(SKIP_3) | instid1(VALU_DEP_4)
	v_cmp_neq_f64_e64 s3, v[84:85], v[90:91]
	v_trunc_f64_e32 v[84:85], v[68:69]
	s_and_b32 vcc_lo, vcc_lo, s0
	v_cmp_class_f64_e64 s0, v[2:3], 0x204
	v_dual_cndmask_b32 v27, v66, v92 :: v_dual_cndmask_b32 v66, v67, v93
	s_delay_alu instid0(VALU_DEP_3) | instskip(NEXT) | instid1(VALU_DEP_3)
	v_cmp_eq_f64_e64 s2, v[84:85], v[68:69]
	s_or_b32 s68, s48, s0
	s_delay_alu instid0(VALU_DEP_1) | instskip(SKIP_3) | instid1(VALU_DEP_2)
	s_and_b32 vcc_lo, s2, s3
	v_cmp_gt_f64_e64 s3, 0, v[68:69]
	v_cndmask_b32_e32 v84, 0x3ff00000, v3, vcc_lo
	v_cndmask_b32_e64 v67, 0, v27, s2
	v_bfi_b32 v66, 0x7fffffff, v66, v84
	v_cndmask_b32_e32 v84, 0, v3, vcc_lo
	s_delay_alu instid0(VALU_DEP_3) | instskip(NEXT) | instid1(VALU_DEP_3)
	v_cndmask_b32_e64 v27, v27, v67, s66
	v_cndmask_b32_e64 v68, 0x7ff80000, v66, s2
	s_delay_alu instid0(VALU_DEP_1) | instskip(NEXT) | instid1(VALU_DEP_3)
	v_cndmask_b32_e64 v68, v66, v68, s66
	v_cndmask_b32_e64 v66, v27, 0, s68
	s_xor_b32 s1, s48, s3
	s_delay_alu instid0(SALU_CYCLE_1) | instskip(SKIP_2) | instid1(VALU_DEP_1)
	v_cndmask_b32_e64 v69, 0x7ff00000, 0, s1
	s_mov_b32 s0, 0x12000000
	s_mov_b32 s1, 0x4243ca65
	v_bfi_b32 v67, 0x7fffffff, v69, v84
	s_delay_alu instid0(VALU_DEP_1) | instskip(NEXT) | instid1(VALU_DEP_1)
	v_cndmask_b32_e64 v67, v68, v67, s68
	v_mul_f64 v[66:67], v[66:67], s[0:1]
	s_mov_b32 s0, 0x9cd9fbd6
	s_mov_b32 s1, 0x3ca3e5ba
	s_delay_alu instid0(VALU_DEP_1) | instid1(SALU_CYCLE_1)
	v_mul_f64 v[68:69], v[66:67], s[0:1]
	s_mov_b32 s0, 0x635807cb
	s_mov_b32 s1, 0x3a520b02
	s_delay_alu instid0(VALU_DEP_1) | instid1(SALU_CYCLE_1)
	v_div_scale_f64 v[84:85], null, s[0:1], s[0:1], v[68:69]
	s_delay_alu instid0(VALU_DEP_1) | instskip(SKIP_2) | instid1(VALU_DEP_1)
	v_rcp_f64_e32 v[90:91], v[84:85]
	s_waitcnt_depctr 0xfff
	v_fma_f64 v[92:93], -v[84:85], v[90:91], 1.0
	v_fma_f64 v[90:91], v[90:91], v[92:93], v[90:91]
	s_delay_alu instid0(VALU_DEP_1) | instskip(NEXT) | instid1(VALU_DEP_1)
	v_fma_f64 v[92:93], -v[84:85], v[90:91], 1.0
	v_fma_f64 v[90:91], v[90:91], v[92:93], v[90:91]
	v_div_scale_f64 v[92:93], vcc_lo, v[68:69], s[0:1], v[68:69]
	s_delay_alu instid0(VALU_DEP_1) | instskip(NEXT) | instid1(VALU_DEP_1)
	v_mul_f64 v[94:95], v[92:93], v[90:91]
	v_fma_f64 v[84:85], -v[84:85], v[94:95], v[92:93]
	s_delay_alu instid0(VALU_DEP_1) | instskip(NEXT) | instid1(VALU_DEP_1)
	v_div_fmas_f64 v[84:85], v[84:85], v[90:91], v[94:95]
	v_div_fixup_f64 v[68:69], v[84:85], s[0:1], v[68:69]
	s_mov_b32 s0, 0xf3a00000
	s_mov_b32 s1, 0x421beb9b
	s_delay_alu instid0(VALU_DEP_1) | instid1(SALU_CYCLE_1)
	v_div_scale_f64 v[84:85], null, s[0:1], s[0:1], v[68:69]
	s_delay_alu instid0(VALU_DEP_1) | instskip(SKIP_2) | instid1(VALU_DEP_1)
	v_rcp_f64_e32 v[90:91], v[84:85]
	s_waitcnt_depctr 0xfff
	v_fma_f64 v[92:93], -v[84:85], v[90:91], 1.0
	v_fma_f64 v[90:91], v[90:91], v[92:93], v[90:91]
	s_delay_alu instid0(VALU_DEP_1) | instskip(NEXT) | instid1(VALU_DEP_1)
	v_fma_f64 v[92:93], -v[84:85], v[90:91], 1.0
	v_fma_f64 v[90:91], v[90:91], v[92:93], v[90:91]
	v_div_scale_f64 v[92:93], vcc_lo, v[68:69], s[0:1], v[68:69]
	s_delay_alu instid0(VALU_DEP_1) | instskip(NEXT) | instid1(VALU_DEP_1)
	v_mul_f64 v[94:95], v[92:93], v[90:91]
	v_fma_f64 v[84:85], -v[84:85], v[94:95], v[92:93]
	s_delay_alu instid0(VALU_DEP_1) | instskip(NEXT) | instid1(VALU_DEP_1)
	v_div_fmas_f64 v[84:85], v[84:85], v[90:91], v[94:95]
	v_div_fixup_f64 v[68:69], v[84:85], s[0:1], v[68:69]
	s_delay_alu instid0(VALU_DEP_1) | instskip(NEXT) | instid1(VALU_DEP_1)
	v_div_scale_f64 v[84:85], null, s[0:1], s[0:1], v[68:69]
	v_rcp_f64_e32 v[90:91], v[84:85]
	s_waitcnt_depctr 0xfff
	v_fma_f64 v[92:93], -v[84:85], v[90:91], 1.0
	s_delay_alu instid0(VALU_DEP_1) | instskip(NEXT) | instid1(VALU_DEP_1)
	v_fma_f64 v[90:91], v[90:91], v[92:93], v[90:91]
	v_fma_f64 v[92:93], -v[84:85], v[90:91], 1.0
	s_delay_alu instid0(VALU_DEP_1) | instskip(SKIP_1) | instid1(VALU_DEP_1)
	v_fma_f64 v[90:91], v[90:91], v[92:93], v[90:91]
	v_div_scale_f64 v[92:93], vcc_lo, v[68:69], s[0:1], v[68:69]
	v_mul_f64 v[94:95], v[92:93], v[90:91]
	s_delay_alu instid0(VALU_DEP_1) | instskip(NEXT) | instid1(VALU_DEP_1)
	v_fma_f64 v[84:85], -v[84:85], v[94:95], v[92:93]
	v_div_fmas_f64 v[84:85], v[84:85], v[90:91], v[94:95]
	s_delay_alu instid0(VALU_DEP_1) | instskip(SKIP_1) | instid1(VALU_DEP_1)
	v_div_fixup_f64 v[68:69], v[84:85], s[0:1], v[68:69]
                                        ; implicit-def: $vgpr84_vgpr85
	s_mov_b32 s0, exec_lo
	v_cmpx_nlt_f64_e32 0x40554000, v[68:69]
	s_xor_b32 s38, exec_lo, s0
	s_cbranch_execz .LBB1_172
; %bb.169:                              ;   in Loop: Header=BB1_79 Depth=1
	s_mov_b32 s0, 0x238f6764
	s_mov_b32 s1, 0x3ef18354
	;; [unrolled: 1-line block ×3, first 2 shown]
	v_dual_mov_b32 v85, s1 :: v_dual_mov_b32 v84, s0
	s_mov_b32 s44, exec_lo
	v_cmpx_ngt_f64_e32 s[62:63], v[68:69]
	s_cbranch_execz .LBB1_171
; %bb.170:                              ;   in Loop: Header=BB1_79 Depth=1
	v_div_scale_f64 v[84:85], null, s[62:63], s[62:63], v[68:69]
	v_div_scale_f64 v[94:95], vcc_lo, v[68:69], s[62:63], v[68:69]
	v_readlane_b32 s2, v184, 14
	v_readlane_b32 s3, v184, 15
	s_mov_b32 s2, s60
	s_mov_b32 s0, 0x6b47b09a
	;; [unrolled: 1-line block ×7, first 2 shown]
	s_delay_alu instid0(VALU_DEP_4) | instskip(SKIP_2) | instid1(VALU_DEP_1)
	v_rcp_f64_e32 v[90:91], v[84:85]
	s_waitcnt_depctr 0xfff
	v_fma_f64 v[92:93], -v[84:85], v[90:91], 1.0
	v_fma_f64 v[90:91], v[90:91], v[92:93], v[90:91]
	s_delay_alu instid0(VALU_DEP_1) | instskip(NEXT) | instid1(VALU_DEP_1)
	v_fma_f64 v[92:93], -v[84:85], v[90:91], 1.0
	v_fma_f64 v[90:91], v[90:91], v[92:93], v[90:91]
	s_delay_alu instid0(VALU_DEP_1) | instskip(NEXT) | instid1(VALU_DEP_1)
	v_mul_f64 v[92:93], v[94:95], v[90:91]
	v_fma_f64 v[84:85], -v[84:85], v[92:93], v[94:95]
	s_delay_alu instid0(VALU_DEP_1) | instskip(NEXT) | instid1(VALU_DEP_1)
	v_div_fmas_f64 v[84:85], v[84:85], v[90:91], v[92:93]
	v_div_fixup_f64 v[84:85], v[84:85], s[62:63], v[68:69]
	s_delay_alu instid0(VALU_DEP_1) | instskip(NEXT) | instid1(VALU_DEP_1)
	v_frexp_mant_f64_e32 v[90:91], v[84:85]
	v_cmp_gt_f64_e32 vcc_lo, s[2:3], v[90:91]
	v_cndmask_b32_e64 v27, 0x3ff00000, 2.0, vcc_lo
	s_delay_alu instid0(VALU_DEP_1) | instskip(SKIP_1) | instid1(VALU_DEP_2)
	v_mul_f64 v[90:91], v[90:91], v[26:27]
	v_frexp_exp_i32_f64_e32 v27, v[84:85]
	v_add_f64 v[92:93], v[90:91], 1.0
	v_add_f64 v[98:99], v[90:91], -1.0
	s_delay_alu instid0(VALU_DEP_3) | instskip(SKIP_1) | instid1(VALU_DEP_4)
	v_subrev_co_ci_u32_e32 v27, vcc_lo, 0, v27, vcc_lo
	v_cmp_class_f64_e64 vcc_lo, v[84:85], 0x204
	v_rcp_f64_e32 v[94:95], v[92:93]
	v_add_f64 v[100:101], v[92:93], -1.0
	s_delay_alu instid0(VALU_DEP_1) | instskip(SKIP_2) | instid1(VALU_DEP_1)
	v_add_f64 v[90:91], v[90:91], -v[100:101]
	s_waitcnt_depctr 0xfff
	v_fma_f64 v[96:97], -v[92:93], v[94:95], 1.0
	v_fma_f64 v[94:95], v[96:97], v[94:95], v[94:95]
	s_delay_alu instid0(VALU_DEP_1) | instskip(NEXT) | instid1(VALU_DEP_1)
	v_fma_f64 v[96:97], -v[92:93], v[94:95], 1.0
	v_fma_f64 v[94:95], v[96:97], v[94:95], v[94:95]
	s_delay_alu instid0(VALU_DEP_1) | instskip(NEXT) | instid1(VALU_DEP_1)
	v_mul_f64 v[96:97], v[98:99], v[94:95]
	v_mul_f64 v[102:103], v[92:93], v[96:97]
	s_delay_alu instid0(VALU_DEP_1) | instskip(NEXT) | instid1(VALU_DEP_1)
	v_fma_f64 v[92:93], v[96:97], v[92:93], -v[102:103]
	v_fma_f64 v[90:91], v[96:97], v[90:91], v[92:93]
	s_delay_alu instid0(VALU_DEP_1) | instskip(NEXT) | instid1(VALU_DEP_1)
	v_add_f64 v[92:93], v[102:103], v[90:91]
	v_add_f64 v[100:101], v[98:99], -v[92:93]
	v_add_f64 v[102:103], v[92:93], -v[102:103]
	s_delay_alu instid0(VALU_DEP_2) | instskip(NEXT) | instid1(VALU_DEP_2)
	v_add_f64 v[98:99], v[98:99], -v[100:101]
	v_add_f64 v[90:91], v[102:103], -v[90:91]
	s_delay_alu instid0(VALU_DEP_2) | instskip(NEXT) | instid1(VALU_DEP_1)
	v_add_f64 v[92:93], v[98:99], -v[92:93]
	v_add_f64 v[90:91], v[90:91], v[92:93]
	s_delay_alu instid0(VALU_DEP_1) | instskip(NEXT) | instid1(VALU_DEP_1)
	v_add_f64 v[90:91], v[100:101], v[90:91]
	v_mul_f64 v[90:91], v[94:95], v[90:91]
	s_delay_alu instid0(VALU_DEP_1) | instskip(NEXT) | instid1(VALU_DEP_1)
	v_add_f64 v[92:93], v[96:97], v[90:91]
	v_mul_f64 v[94:95], v[92:93], v[92:93]
	s_delay_alu instid0(VALU_DEP_1)
	v_fma_f64 v[98:99], v[94:95], s[4:5], s[0:1]
	s_mov_b32 s0, 0xd7f4df2e
	s_mov_b32 s1, 0x3fc7474d
	v_readlane_b32 s4, v184, 16
	v_readlane_b32 s5, v184, 17
	v_mul_f64 v[100:101], v[92:93], v[94:95]
	s_delay_alu instid0(VALU_DEP_3) | instskip(NEXT) | instid1(SALU_CYCLE_1)
	s_mov_b32 s2, s4
	v_writelane_b32 v184, s2, 16
	v_writelane_b32 v184, s3, 17
	v_fma_f64 v[98:99], v[94:95], v[98:99], s[0:1]
	s_mov_b32 s0, 0x16291751
	s_mov_b32 s1, 0x3fcc71c0
	s_delay_alu instid0(VALU_DEP_1) | instid1(SALU_CYCLE_1)
	v_fma_f64 v[98:99], v[94:95], v[98:99], s[0:1]
	s_mov_b32 s0, 0x924920da
	s_mov_b32 s1, 0x3fd24924
	;; [unrolled: 1-line block ×3, first 2 shown]
	v_readlane_b32 s4, v184, 18
	v_readlane_b32 s5, v184, 19
	s_delay_alu instid0(VALU_DEP_2) | instskip(NEXT) | instid1(SALU_CYCLE_1)
	s_mov_b32 s2, s4
	v_writelane_b32 v184, s2, 18
	v_writelane_b32 v184, s3, 19
	v_fma_f64 v[98:99], v[94:95], v[98:99], s[0:1]
	s_mov_b32 s0, 0x9999999c
	s_mov_b32 s1, 0x3fd99999
	;; [unrolled: 1-line block ×3, first 2 shown]
	s_delay_alu instid0(VALU_DEP_1) | instid1(SALU_CYCLE_1)
	v_fma_f64 v[98:99], v[94:95], v[98:99], s[0:1]
	s_mov_b32 s1, s3
	v_writelane_b32 v184, s0, 14
	v_writelane_b32 v184, s1, 15
	s_delay_alu instid0(VALU_DEP_1) | instskip(SKIP_1) | instid1(VALU_DEP_2)
	v_readlane_b32 s0, v184, 20
	v_readlane_b32 s1, v184, 21
	s_mov_b32 s2, s0
	v_writelane_b32 v184, s0, 20
	s_delay_alu instid0(VALU_DEP_2)
	v_writelane_b32 v184, s1, 21
	s_mov_b32 s0, 0x998fffa0
	s_mov_b32 s1, 0x401ba18a
	v_fma_f64 v[94:95], v[94:95], v[98:99], s[2:3]
	v_ldexp_f64 v[98:99], v[92:93], 1
	v_add_f64 v[92:93], v[92:93], -v[96:97]
	s_mov_b32 s2, 0xfefa39ef
	s_mov_b32 s3, 0x3fe62e42
	s_delay_alu instid0(VALU_DEP_3) | instskip(SKIP_1) | instid1(VALU_DEP_3)
	v_mul_f64 v[94:95], v[100:101], v[94:95]
	v_cvt_f64_i32_e32 v[100:101], v27
	v_add_f64 v[90:91], v[90:91], -v[92:93]
	s_delay_alu instid0(VALU_DEP_3) | instskip(NEXT) | instid1(VALU_DEP_3)
	v_add_f64 v[96:97], v[98:99], v[94:95]
	v_mul_f64 v[102:103], v[100:101], s[2:3]
	s_delay_alu instid0(VALU_DEP_3) | instskip(NEXT) | instid1(VALU_DEP_3)
	v_ldexp_f64 v[90:91], v[90:91], 1
	v_add_f64 v[92:93], v[96:97], -v[98:99]
	s_delay_alu instid0(VALU_DEP_3) | instskip(SKIP_1) | instid1(VALU_DEP_2)
	v_fma_f64 v[98:99], v[100:101], s[2:3], -v[102:103]
	s_mov_b32 s3, s41
	v_add_f64 v[92:93], v[94:95], -v[92:93]
	s_delay_alu instid0(VALU_DEP_2) | instskip(NEXT) | instid1(VALU_DEP_2)
	v_fma_f64 v[94:95], v[100:101], s[86:87], v[98:99]
	v_add_f64 v[90:91], v[90:91], v[92:93]
	s_delay_alu instid0(VALU_DEP_2) | instskip(NEXT) | instid1(VALU_DEP_2)
	v_add_f64 v[92:93], v[102:103], v[94:95]
	v_add_f64 v[98:99], v[96:97], v[90:91]
	s_delay_alu instid0(VALU_DEP_2) | instskip(NEXT) | instid1(VALU_DEP_2)
	v_add_f64 v[100:101], v[92:93], -v[102:103]
	v_add_f64 v[102:103], v[92:93], v[98:99]
	s_delay_alu instid0(VALU_DEP_2) | instskip(SKIP_1) | instid1(VALU_DEP_3)
	v_add_f64 v[94:95], v[94:95], -v[100:101]
	v_add_f64 v[96:97], v[98:99], -v[96:97]
	;; [unrolled: 1-line block ×3, first 2 shown]
	s_delay_alu instid0(VALU_DEP_2) | instskip(NEXT) | instid1(VALU_DEP_2)
	v_add_f64 v[90:91], v[90:91], -v[96:97]
	v_add_f64 v[96:97], v[102:103], -v[100:101]
	;; [unrolled: 1-line block ×3, first 2 shown]
	s_delay_alu instid0(VALU_DEP_2) | instskip(NEXT) | instid1(VALU_DEP_4)
	v_add_f64 v[92:93], v[92:93], -v[96:97]
	v_add_f64 v[96:97], v[94:95], v[90:91]
	s_delay_alu instid0(VALU_DEP_2) | instskip(NEXT) | instid1(VALU_DEP_2)
	v_add_f64 v[92:93], v[98:99], v[92:93]
	v_add_f64 v[98:99], v[96:97], -v[94:95]
	s_delay_alu instid0(VALU_DEP_2) | instskip(NEXT) | instid1(VALU_DEP_2)
	v_add_f64 v[92:93], v[96:97], v[92:93]
	v_add_f64 v[96:97], v[96:97], -v[98:99]
	v_add_f64 v[90:91], v[90:91], -v[98:99]
	s_delay_alu instid0(VALU_DEP_3) | instskip(NEXT) | instid1(VALU_DEP_3)
	v_add_f64 v[100:101], v[102:103], v[92:93]
	v_add_f64 v[94:95], v[94:95], -v[96:97]
	s_delay_alu instid0(VALU_DEP_2) | instskip(NEXT) | instid1(VALU_DEP_2)
	v_add_f64 v[96:97], v[100:101], -v[102:103]
	v_add_f64 v[90:91], v[90:91], v[94:95]
	s_delay_alu instid0(VALU_DEP_2) | instskip(NEXT) | instid1(VALU_DEP_1)
	v_add_f64 v[92:93], v[92:93], -v[96:97]
	v_add_f64 v[90:91], v[90:91], v[92:93]
	s_delay_alu instid0(VALU_DEP_1) | instskip(NEXT) | instid1(VALU_DEP_1)
	v_add_f64 v[90:91], v[100:101], v[90:91]
	v_dual_cndmask_b32 v91, v91, v85 :: v_dual_cndmask_b32 v90, v90, v84
	s_delay_alu instid0(VALU_DEP_1) | instskip(SKIP_1) | instid1(VALU_DEP_2)
	v_div_scale_f64 v[92:93], null, s[0:1], s[0:1], v[90:91]
	v_div_scale_f64 v[98:99], vcc_lo, v[90:91], s[0:1], v[90:91]
	v_rcp_f64_e32 v[94:95], v[92:93]
	s_waitcnt_depctr 0xfff
	v_fma_f64 v[96:97], -v[92:93], v[94:95], 1.0
	s_delay_alu instid0(VALU_DEP_1) | instskip(NEXT) | instid1(VALU_DEP_1)
	v_fma_f64 v[94:95], v[94:95], v[96:97], v[94:95]
	v_fma_f64 v[96:97], -v[92:93], v[94:95], 1.0
	s_delay_alu instid0(VALU_DEP_1) | instskip(NEXT) | instid1(VALU_DEP_1)
	v_fma_f64 v[94:95], v[94:95], v[96:97], v[94:95]
	v_mul_f64 v[96:97], v[98:99], v[94:95]
	s_delay_alu instid0(VALU_DEP_1) | instskip(NEXT) | instid1(VALU_DEP_1)
	v_fma_f64 v[92:93], -v[92:93], v[96:97], v[98:99]
	v_div_fmas_f64 v[92:93], v[92:93], v[94:95], v[96:97]
	v_cmp_neq_f64_e32 vcc_lo, 0, v[84:85]
	s_delay_alu instid0(VALU_DEP_2) | instskip(SKIP_3) | instid1(VALU_DEP_1)
	v_div_fixup_f64 v[90:91], v[92:93], s[0:1], v[90:91]
	s_getpc_b64 s[0:1]
	s_add_u32 s0, s0, _ZL6K2_tab@rel32@lo+4
	s_addc_u32 s1, s1, _ZL6K2_tab@rel32@hi+12
	v_mul_f64 v[90:91], 0x40490000, v[90:91]
	s_delay_alu instid0(VALU_DEP_1) | instskip(NEXT) | instid1(VALU_DEP_2)
	v_cndmask_b32_e32 v85, 0xfff00000, v91, vcc_lo
	v_cndmask_b32_e32 v84, 0, v90, vcc_lo
	s_delay_alu instid0(VALU_DEP_1) | instskip(NEXT) | instid1(VALU_DEP_1)
	v_floor_f64_e32 v[90:91], v[84:85]
	v_cvt_i32_f64_e32 v94, v[90:91]
	s_delay_alu instid0(VALU_DEP_1) | instskip(NEXT) | instid1(VALU_DEP_1)
	v_ashrrev_i32_e32 v95, 31, v94
	v_lshlrev_b64 v[90:91], 3, v[94:95]
	v_cvt_f64_i32_e32 v[94:95], v94
	s_delay_alu instid0(VALU_DEP_2) | instskip(NEXT) | instid1(VALU_DEP_3)
	v_add_co_u32 v90, vcc_lo, v90, s0
	v_add_co_ci_u32_e32 v91, vcc_lo, s1, v91, vcc_lo
	s_mov_b32 s0, 0x652b82fe
	s_mov_b32 s1, 0x3ff71547
	global_load_b128 v[90:93], v[90:91], off
	v_add_f64 v[84:85], v[84:85], -v[94:95]
	s_delay_alu instid0(VALU_DEP_1) | instskip(SKIP_2) | instid1(VALU_DEP_1)
	v_add_f64 v[94:95], -v[84:85], 1.0
	s_waitcnt vmcnt(0)
	v_mul_f64 v[84:85], v[84:85], v[92:93]
	v_fma_f64 v[84:85], v[94:95], v[90:91], v[84:85]
	s_delay_alu instid0(VALU_DEP_1)
	v_mul_f64 v[90:91], v[84:85], s[0:1]
	s_mov_b32 s1, s25
	s_mov_b32 s0, s2
	s_mov_b32 s2, s86
	v_cmp_nlt_f64_e32 vcc_lo, 0x40900000, v[84:85]
	s_mov_b64 s[40:41], s[2:3]
	s_mov_b32 s2, 0x6a5dcb37
	s_mov_b32 s3, 0x3e5ade15
	v_cmp_ngt_f64_e64 s4, 0xc090cc00, v[84:85]
	s_delay_alu instid0(VALU_DEP_3) | instskip(NEXT) | instid1(VALU_DEP_1)
	v_rndne_f64_e32 v[90:91], v[90:91]
	v_fma_f64 v[92:93], v[90:91], s[0:1], v[84:85]
	s_mov_b32 s0, 0xfca7ab0c
	s_mov_b32 s1, 0x3e928af3
	v_cvt_i32_f64_e32 v27, v[90:91]
	s_delay_alu instid0(VALU_DEP_2) | instskip(NEXT) | instid1(VALU_DEP_1)
	v_fma_f64 v[92:93], v[90:91], s[40:41], v[92:93]
	v_fma_f64 v[94:95], v[92:93], s[2:3], s[0:1]
	s_mov_b32 s0, 0x623fde64
	s_mov_b32 s1, 0x3ec71dee
	s_delay_alu instid0(VALU_DEP_1) | instid1(SALU_CYCLE_1)
	v_fma_f64 v[94:95], v[92:93], v[94:95], s[0:1]
	s_mov_b32 s0, 0x7c89e6b0
	s_mov_b32 s1, 0x3efa0199
	s_delay_alu instid0(VALU_DEP_1) | instid1(SALU_CYCLE_1)
	;; [unrolled: 4-line block ×8, first 2 shown]
	v_fma_f64 v[94:95], v[92:93], v[94:95], s[0:1]
	s_delay_alu instid0(VALU_DEP_1) | instskip(NEXT) | instid1(VALU_DEP_1)
	v_fma_f64 v[94:95], v[92:93], v[94:95], 1.0
	v_fma_f64 v[90:91], v[92:93], v[94:95], 1.0
	s_delay_alu instid0(VALU_DEP_1) | instskip(NEXT) | instid1(VALU_DEP_1)
	v_ldexp_f64 v[90:91], v[90:91], v27
	v_cndmask_b32_e32 v27, 0x7ff00000, v91, vcc_lo
	s_and_b32 vcc_lo, s4, vcc_lo
	s_delay_alu instid0(VALU_DEP_2) | instskip(NEXT) | instid1(VALU_DEP_2)
	v_cndmask_b32_e32 v84, 0, v90, vcc_lo
	v_cndmask_b32_e64 v85, 0, v27, s4
.LBB1_171:                              ;   in Loop: Header=BB1_79 Depth=1
	s_or_b32 exec_lo, exec_lo, s44
.LBB1_172:                              ;   in Loop: Header=BB1_79 Depth=1
	s_and_not1_saveexec_b32 s4, s38
	s_cbranch_execz .LBB1_77
; %bb.173:                              ;   in Loop: Header=BB1_79 Depth=1
	v_add_f64 v[84:85], v[68:69], v[68:69]
	s_delay_alu instid0(VALU_DEP_1)
	v_mul_f64 v[84:85], v[68:69], v[84:85]
	s_branch .LBB1_77
.LBB1_174:
	s_delay_alu instid0(VALU_DEP_1) | instskip(SKIP_1) | instid1(VALU_DEP_2)
	v_readlane_b32 s0, v184, 4
	v_readlane_b32 s1, v184, 5
	s_or_b32 exec_lo, exec_lo, s0
	v_readlane_b32 s0, v184, 0
	v_readlane_b32 s1, v184, 1
	v_readlane_b32 s2, v184, 2
	v_readlane_b32 s3, v184, 3
	s_delay_alu instid0(VALU_DEP_3)
	v_mul_f64 v[0:1], s[0:1], 0.5
	s_mov_b32 s0, 0x7b2969f6
	s_mov_b32 s1, 0x3df0a49b
	s_delay_alu instid0(VALU_DEP_1) | instid1(SALU_CYCLE_1)
	v_div_scale_f64 v[2:3], null, v[0:1], v[0:1], s[0:1]
	v_div_scale_f64 v[8:9], vcc_lo, s[0:1], v[0:1], s[0:1]
	s_delay_alu instid0(VALU_DEP_2) | instskip(SKIP_2) | instid1(VALU_DEP_1)
	v_rcp_f64_e32 v[4:5], v[2:3]
	s_waitcnt_depctr 0xfff
	v_fma_f64 v[6:7], -v[2:3], v[4:5], 1.0
	v_fma_f64 v[4:5], v[4:5], v[6:7], v[4:5]
	s_delay_alu instid0(VALU_DEP_1) | instskip(NEXT) | instid1(VALU_DEP_1)
	v_fma_f64 v[6:7], -v[2:3], v[4:5], 1.0
	v_fma_f64 v[4:5], v[4:5], v[6:7], v[4:5]
	s_delay_alu instid0(VALU_DEP_1) | instskip(NEXT) | instid1(VALU_DEP_1)
	v_mul_f64 v[6:7], v[8:9], v[4:5]
	v_fma_f64 v[2:3], -v[2:3], v[6:7], v[8:9]
	s_delay_alu instid0(VALU_DEP_1) | instskip(NEXT) | instid1(VALU_DEP_1)
	v_div_fmas_f64 v[2:3], v[2:3], v[4:5], v[6:7]
	v_div_fixup_f64 v[2:3], v[2:3], v[0:1], s[0:1]
	s_delay_alu instid0(VALU_DEP_1) | instskip(SKIP_2) | instid1(VALU_DEP_1)
	v_mul_f64 v[2:3], v[2:3], s[0:1]
	s_mov_b32 s0, 0x208d29e
	s_mov_b32 s1, 0x449637f1
	v_div_scale_f64 v[4:5], null, v[0:1], v[0:1], v[2:3]
	v_div_scale_f64 v[10:11], vcc_lo, v[2:3], v[0:1], v[2:3]
	s_delay_alu instid0(VALU_DEP_2) | instskip(SKIP_2) | instid1(VALU_DEP_1)
	v_rcp_f64_e32 v[6:7], v[4:5]
	s_waitcnt_depctr 0xfff
	v_fma_f64 v[8:9], -v[4:5], v[6:7], 1.0
	v_fma_f64 v[6:7], v[6:7], v[8:9], v[6:7]
	s_delay_alu instid0(VALU_DEP_1) | instskip(NEXT) | instid1(VALU_DEP_1)
	v_fma_f64 v[8:9], -v[4:5], v[6:7], 1.0
	v_fma_f64 v[6:7], v[6:7], v[8:9], v[6:7]
	s_delay_alu instid0(VALU_DEP_1) | instskip(NEXT) | instid1(VALU_DEP_1)
	v_mul_f64 v[8:9], v[10:11], v[6:7]
	v_fma_f64 v[4:5], -v[4:5], v[8:9], v[10:11]
	s_delay_alu instid0(VALU_DEP_1) | instskip(NEXT) | instid1(VALU_DEP_1)
	v_div_fmas_f64 v[4:5], v[4:5], v[6:7], v[8:9]
	v_div_fixup_f64 v[0:1], v[4:5], v[0:1], v[2:3]
	v_mul_f64 v[2:3], s[2:3], v[42:43]
	s_delay_alu instid0(VALU_DEP_2) | instskip(NEXT) | instid1(VALU_DEP_2)
	v_mul_f64 v[0:1], v[0:1], s[0:1]
	v_mul_f64 v[2:3], s[2:3], v[2:3]
	s_delay_alu instid0(VALU_DEP_2) | instskip(SKIP_2) | instid1(VALU_DEP_2)
	v_mul_f64 v[0:1], v[0:1], s[0:1]
	s_mov_b32 s0, 0x53c8d4f1
	s_mov_b32 s1, 0x400921fb
	v_mul_f64 v[2:3], s[2:3], v[2:3]
	s_delay_alu instid0(VALU_DEP_2) | instskip(NEXT) | instid1(VALU_DEP_1)
	v_mul_f64 v[0:1], v[0:1], 4.0
	v_mul_f64 v[0:1], v[0:1], s[0:1]
	v_readlane_b32 s0, v184, 12
	v_readlane_b32 s1, v184, 13
	s_delay_alu instid0(VALU_DEP_3) | instskip(NEXT) | instid1(VALU_DEP_1)
	v_mul_f64 v[0:1], v[0:1], s[2:3]
	v_mul_f64 v[0:1], v[0:1], v[2:3]
	v_dual_mov_b32 v3, 0 :: v_dual_add_nc_u32 v2, 2, v24
	s_delay_alu instid0(VALU_DEP_1) | instskip(NEXT) | instid1(VALU_DEP_1)
	v_lshlrev_b64 v[2:3], 3, v[2:3]
	v_add_co_u32 v2, vcc_lo, s0, v2
	s_delay_alu instid0(VALU_DEP_2)
	v_add_co_ci_u32_e32 v3, vcc_lo, s1, v3, vcc_lo
	global_store_b64 v[2:3], v[0:1], off
.LBB1_175:
	s_nop 0
	s_sendmsg sendmsg(MSG_DEALLOC_VGPRS)
	s_endpgm
	.section	.rodata,"a",@progbits
	.p2align	6, 0x0
	.amdhsa_kernel _Z5task2PdS_ii
		.amdhsa_group_segment_fixed_size 0
		.amdhsa_private_segment_fixed_size 0
		.amdhsa_kernarg_size 280
		.amdhsa_user_sgpr_count 14
		.amdhsa_user_sgpr_dispatch_ptr 0
		.amdhsa_user_sgpr_queue_ptr 0
		.amdhsa_user_sgpr_kernarg_segment_ptr 1
		.amdhsa_user_sgpr_dispatch_id 0
		.amdhsa_user_sgpr_private_segment_size 0
		.amdhsa_wavefront_size32 1
		.amdhsa_uses_dynamic_stack 0
		.amdhsa_enable_private_segment 0
		.amdhsa_system_sgpr_workgroup_id_x 1
		.amdhsa_system_sgpr_workgroup_id_y 1
		.amdhsa_system_sgpr_workgroup_id_z 0
		.amdhsa_system_sgpr_workgroup_info 0
		.amdhsa_system_vgpr_workitem_id 1
		.amdhsa_next_free_vgpr 185
		.amdhsa_next_free_sgpr 104
		.amdhsa_reserve_vcc 1
		.amdhsa_float_round_mode_32 0
		.amdhsa_float_round_mode_16_64 0
		.amdhsa_float_denorm_mode_32 3
		.amdhsa_float_denorm_mode_16_64 3
		.amdhsa_dx10_clamp 1
		.amdhsa_ieee_mode 1
		.amdhsa_fp16_overflow 0
		.amdhsa_workgroup_processor_mode 1
		.amdhsa_memory_ordered 1
		.amdhsa_forward_progress 0
		.amdhsa_shared_vgpr_count 0
		.amdhsa_exception_fp_ieee_invalid_op 0
		.amdhsa_exception_fp_denorm_src 0
		.amdhsa_exception_fp_ieee_div_zero 0
		.amdhsa_exception_fp_ieee_overflow 0
		.amdhsa_exception_fp_ieee_underflow 0
		.amdhsa_exception_fp_ieee_inexact 0
		.amdhsa_exception_int_div_zero 0
	.end_amdhsa_kernel
	.text
.Lfunc_end1:
	.size	_Z5task2PdS_ii, .Lfunc_end1-_Z5task2PdS_ii
                                        ; -- End function
	.section	.AMDGPU.csdata,"",@progbits
; Kernel info:
; codeLenInByte = 82576
; NumSgprs: 106
; NumVgprs: 185
; ScratchSize: 0
; MemoryBound: 0
; FloatMode: 240
; IeeeMode: 1
; LDSByteSize: 0 bytes/workgroup (compile time only)
; SGPRBlocks: 13
; VGPRBlocks: 23
; NumSGPRsForWavesPerEU: 106
; NumVGPRsForWavesPerEU: 185
; Occupancy: 8
; WaveLimiterHint : 0
; COMPUTE_PGM_RSRC2:SCRATCH_EN: 0
; COMPUTE_PGM_RSRC2:USER_SGPR: 14
; COMPUTE_PGM_RSRC2:TRAP_HANDLER: 0
; COMPUTE_PGM_RSRC2:TGID_X_EN: 1
; COMPUTE_PGM_RSRC2:TGID_Y_EN: 1
; COMPUTE_PGM_RSRC2:TGID_Z_EN: 0
; COMPUTE_PGM_RSRC2:TIDIG_COMP_CNT: 1
	.text
	.p2alignl 7, 3214868480
	.fill 96, 4, 3214868480
	.type	_ZL6K2_tab,@object              ; @_ZL6K2_tab
	.section	.rodata,"a",@progbits
	.p2align	4, 0x0
_ZL6K2_tab:
	.quad	0xc0257e76ea422899              ; double -10.747000999999999
	.quad	0xc022b9a2a4db163c              ; double -9.3625690000000005
	;; [unrolled: 1-line block ×16, first 2 shown]
	.quad	0x3fd0ead0c3d25248              ; double 0.26433200000000001
	.quad	0x3fe301797cc39ffd              ; double 0.59392999999999996
	;; [unrolled: 1-line block ×34, first 2 shown]
	.size	_ZL6K2_tab, 400

	.type	__hip_cuid_ed5e2e14cb5991e8,@object ; @__hip_cuid_ed5e2e14cb5991e8
	.section	.bss,"aw",@nobits
	.globl	__hip_cuid_ed5e2e14cb5991e8
__hip_cuid_ed5e2e14cb5991e8:
	.byte	0                               ; 0x0
	.size	__hip_cuid_ed5e2e14cb5991e8, 1

	.ident	"AMD clang version 19.0.0git (https://github.com/RadeonOpenCompute/llvm-project roc-6.4.0 25133 c7fe45cf4b819c5991fe208aaa96edf142730f1d)"
	.section	".note.GNU-stack","",@progbits
	.addrsig
	.addrsig_sym __hip_cuid_ed5e2e14cb5991e8
	.amdgpu_metadata
---
amdhsa.kernels:
  - .args:
      - .actual_access:  write_only
        .address_space:  global
        .offset:         0
        .size:           8
        .value_kind:     global_buffer
      - .actual_access:  read_only
        .address_space:  global
        .offset:         8
        .size:           8
        .value_kind:     global_buffer
      - .offset:         16
        .size:           4
        .value_kind:     by_value
      - .offset:         20
        .size:           4
        .value_kind:     by_value
      - .offset:         24
        .size:           4
        .value_kind:     hidden_block_count_x
      - .offset:         28
        .size:           4
        .value_kind:     hidden_block_count_y
      - .offset:         32
        .size:           4
        .value_kind:     hidden_block_count_z
      - .offset:         36
        .size:           2
        .value_kind:     hidden_group_size_x
      - .offset:         38
        .size:           2
        .value_kind:     hidden_group_size_y
      - .offset:         40
        .size:           2
        .value_kind:     hidden_group_size_z
      - .offset:         42
        .size:           2
        .value_kind:     hidden_remainder_x
      - .offset:         44
        .size:           2
        .value_kind:     hidden_remainder_y
      - .offset:         46
        .size:           2
        .value_kind:     hidden_remainder_z
      - .offset:         64
        .size:           8
        .value_kind:     hidden_global_offset_x
      - .offset:         72
        .size:           8
        .value_kind:     hidden_global_offset_y
      - .offset:         80
        .size:           8
        .value_kind:     hidden_global_offset_z
      - .offset:         88
        .size:           2
        .value_kind:     hidden_grid_dims
    .group_segment_fixed_size: 0
    .kernarg_segment_align: 8
    .kernarg_segment_size: 280
    .language:       OpenCL C
    .language_version:
      - 2
      - 0
    .max_flat_workgroup_size: 1024
    .name:           _Z5task1PdS_ii
    .private_segment_fixed_size: 0
    .sgpr_count:     106
    .sgpr_spill_count: 20
    .symbol:         _Z5task1PdS_ii.kd
    .uniform_work_group_size: 1
    .uses_dynamic_stack: false
    .vgpr_count:     172
    .vgpr_spill_count: 0
    .wavefront_size: 32
    .workgroup_processor_mode: 1
  - .args:
      - .actual_access:  write_only
        .address_space:  global
        .offset:         0
        .size:           8
        .value_kind:     global_buffer
      - .actual_access:  read_only
        .address_space:  global
        .offset:         8
        .size:           8
        .value_kind:     global_buffer
      - .offset:         16
        .size:           4
        .value_kind:     by_value
      - .offset:         20
        .size:           4
        .value_kind:     by_value
      - .offset:         24
        .size:           4
        .value_kind:     hidden_block_count_x
      - .offset:         28
        .size:           4
        .value_kind:     hidden_block_count_y
      - .offset:         32
        .size:           4
        .value_kind:     hidden_block_count_z
      - .offset:         36
        .size:           2
        .value_kind:     hidden_group_size_x
      - .offset:         38
        .size:           2
        .value_kind:     hidden_group_size_y
      - .offset:         40
        .size:           2
        .value_kind:     hidden_group_size_z
      - .offset:         42
        .size:           2
        .value_kind:     hidden_remainder_x
      - .offset:         44
        .size:           2
        .value_kind:     hidden_remainder_y
      - .offset:         46
        .size:           2
        .value_kind:     hidden_remainder_z
      - .offset:         64
        .size:           8
        .value_kind:     hidden_global_offset_x
      - .offset:         72
        .size:           8
        .value_kind:     hidden_global_offset_y
      - .offset:         80
        .size:           8
        .value_kind:     hidden_global_offset_z
      - .offset:         88
        .size:           2
        .value_kind:     hidden_grid_dims
    .group_segment_fixed_size: 0
    .kernarg_segment_align: 8
    .kernarg_segment_size: 280
    .language:       OpenCL C
    .language_version:
      - 2
      - 0
    .max_flat_workgroup_size: 1024
    .name:           _Z5task2PdS_ii
    .private_segment_fixed_size: 0
    .sgpr_count:     106
    .sgpr_spill_count: 66
    .symbol:         _Z5task2PdS_ii.kd
    .uniform_work_group_size: 1
    .uses_dynamic_stack: false
    .vgpr_count:     185
    .vgpr_spill_count: 0
    .wavefront_size: 32
    .workgroup_processor_mode: 1
amdhsa.target:   amdgcn-amd-amdhsa--gfx1100
amdhsa.version:
  - 1
  - 2
...

	.end_amdgpu_metadata
